;; amdgpu-corpus repo=ROCm/rccl kind=compiled arch=gfx942 opt=O3
	.text
	.amdgcn_target "amdgcn-amd-amdhsa--gfx942"
	.amdhsa_code_object_version 6
	.p2align	2                               ; -- Begin function _ZN12_GLOBAL__N_17runRingIa7FuncSumIaE7ProtoLLLi0ELi1ELi0EEEviiP15ncclDevWorkColl
	.type	_ZN12_GLOBAL__N_17runRingIa7FuncSumIaE7ProtoLLLi0ELi1ELi0EEEviiP15ncclDevWorkColl,@function
_ZN12_GLOBAL__N_17runRingIa7FuncSumIaE7ProtoLLLi0ELi1ELi0EEEviiP15ncclDevWorkColl: ; @_ZN12_GLOBAL__N_17runRingIa7FuncSumIaE7ProtoLLLi0ELi1ELi0EEEviiP15ncclDevWorkColl
; %bb.0:
	s_waitcnt vmcnt(0) expcnt(0) lgkmcnt(0)
	s_or_saveexec_b64 s[0:1], -1
	scratch_store_dword off, v63, s32 offset:32 ; 4-byte Folded Spill
	s_mov_b64 exec, s[0:1]
	v_accvgpr_write_b32 a5, v40             ;  Reload Reuse
	v_accvgpr_write_b32 a26, v41            ;  Reload Reuse
	v_accvgpr_write_b32 a27, v42            ;  Reload Reuse
	;; [unrolled: 1-line block ×6, first 2 shown]
	scratch_store_dword off, v47, s32 offset:28 ; 4-byte Folded Spill
	scratch_store_dword off, v56, s32 offset:24 ; 4-byte Folded Spill
	;; [unrolled: 1-line block ×7, first 2 shown]
	scratch_store_dword off, v62, s32       ; 4-byte Folded Spill
	v_writelane_b32 v63, s34, 0
	v_writelane_b32 v63, s35, 1
	;; [unrolled: 1-line block ×25, first 2 shown]
	s_nop 1
	v_writelane_b32 v63, s31, 25
	s_trap 2
	ds_read_b64 v[4:5], v0
	flat_load_ushort v9, v[2:3] offset:8
	flat_load_dwordx2 v[16:17], v[2:3]
	ds_read_b32 v6, v0
	v_mov_b32_e32 v14, v0
                                        ; implicit-def: $vgpr50_vgpr51
                                        ; implicit-def: $vgpr44_vgpr45
	s_waitcnt lgkmcnt(0)
	flat_load_dwordx2 v[36:37], v[4:5]
                                        ; implicit-def: $vgpr4_vgpr5
	s_waitcnt vmcnt(0)
	v_mov_b32_e32 v8, v17
	v_cmp_ne_u32_sdwa s[0:1], v16, v6 src0_sel:BYTE_0 src1_sel:DWORD
	s_and_saveexec_b64 s[2:3], s[0:1]
	s_xor_b64 s[0:1], exec, s[2:3]
	s_cbranch_execz .LBB0_6
; %bb.1:
	v_not_b32_sdwa v0, v16 dst_sel:DWORD dst_unused:UNUSED_PAD src0_sel:BYTE_0
	v_cmp_ne_u32_sdwa s[2:3], v16, v6 src0_sel:BYTE_1 src1_sel:DWORD
                                        ; implicit-def: $vgpr50_vgpr51
                                        ; implicit-def: $vgpr4_vgpr5
                                        ; implicit-def: $vgpr44_vgpr45
	s_and_saveexec_b64 s[4:5], s[2:3]
	s_xor_b64 s[2:3], exec, s[4:5]
	s_cbranch_execz .LBB0_3
; %bb.2:
	flat_load_dwordx4 v[10:13], v[2:3] offset:72
	flat_load_dwordx2 v[4:5], v[2:3] offset:96
	v_add_u32_e32 v0, v6, v0
	v_ashrrev_i32_e32 v6, 31, v0
	s_waitcnt vmcnt(0) lgkmcnt(0)
	v_mul_lo_u32 v6, v12, v6
	v_mad_u64_u32 v[44:45], s[4:5], v12, v0, v[10:11]
	v_mul_lo_u32 v0, v13, v0
	v_lshrrev_b64 v[50:51], 21, v[4:5]
	v_add3_u32 v45, v0, v45, v6
	v_mov_b64_e32 v[4:5], v[12:13]
                                        ; implicit-def: $vgpr0
.LBB0_3:
	s_andn2_saveexec_b64 s[2:3], s[2:3]
	s_cbranch_execz .LBB0_5
; %bb.4:
	flat_load_dwordx4 v[10:13], v[2:3] offset:72
	flat_load_dwordx4 v[4:7], v[2:3] offset:88
	v_add_u32_sdwa v0, v16, v0 dst_sel:DWORD dst_unused:UNUSED_PAD src0_sel:BYTE_1 src1_sel:DWORD
	s_waitcnt vmcnt(0) lgkmcnt(0)
	v_ashrrev_i32_e32 v6, 31, v0
	v_mul_lo_u32 v6, v12, v6
	v_mad_u64_u32 v[44:45], s[4:5], v12, v0, v[10:11]
	v_mul_lo_u32 v0, v13, v0
	v_add3_u32 v45, v0, v45, v6
	v_lshrrev_b32_e32 v50, 10, v7
.LBB0_5:
	s_or_b64 exec, exec, s[2:3]
.LBB0_6:
	s_andn2_saveexec_b64 s[0:1], s[0:1]
	s_cbranch_execz .LBB0_8
; %bb.7:
	flat_load_dwordx2 v[4:5], v[2:3] offset:72
	flat_load_dwordx2 v[50:51], v[2:3] offset:96
	v_mov_b64_e32 v[44:45], 0
.LBB0_8:
	s_or_b64 exec, exec, s[0:1]
	flat_load_dwordx4 v[10:13], v[2:3] offset:16
	s_brev_b32 s0, 34
	v_and_b32_e32 v0, 0x44000000, v16
	v_cmp_eq_u32_e64 s[16:17], s0, v0
	v_mov_b32_e32 v0, v14
	v_bfe_u32 v3, v8, 1, 30
	v_cndmask_b32_e64 v2, v1, 64, s[16:17]
	v_cmp_ge_i32_e32 vcc, v0, v2
	s_and_saveexec_b64 s[0:1], vcc
	s_xor_b64 s[2:3], exec, s[0:1]
	s_cbranch_execz .LBB0_40
; %bb.9:
	s_waitcnt vmcnt(0) lgkmcnt(0)
	v_cmp_ne_u64_e32 vcc, v[12:13], v[10:11]
	v_cmp_eq_u32_e64 s[0:1], v36, v3
	s_and_b64 s[4:5], vcc, s[0:1]
	s_and_saveexec_b64 s[0:1], s[4:5]
	s_cbranch_execz .LBB0_39
; %bb.10:
	v_sub_u32_e32 v25, v14, v2
	v_ashrrev_i32_e32 v0, 31, v25
	v_lshrrev_b32_e32 v0, 26, v0
	v_add_u32_e32 v0, v25, v0
	v_and_b32_e32 v3, 0xffffffc0, v0
	v_sub_u32_e32 v22, v25, v3
	v_cmp_gt_i32_e32 vcc, 1, v22
	v_mov_b32_e32 v3, 0
	s_and_saveexec_b64 s[4:5], vcc
; %bb.11:
	v_add_u32_e32 v3, v12, v44
	v_add_u32_e32 v6, v10, v44
	v_or_b32_e32 v3, v3, v6
	v_and_b32_e32 v3, 15, v3
	v_cmp_ne_u32_e32 vcc, 0, v3
	s_nop 1
	v_cndmask_b32_e64 v3, 0, 1, vcc
; %bb.12:
	s_or_b64 exec, exec, s[4:5]
	v_ashrrev_i32_e32 v26, 6, v0
	v_sub_u32_e32 v24, v1, v2
	;;#ASMSTART
	;;#ASMEND
	s_nop 0
	v_cmp_ne_u32_e32 vcc, 0, v3
	s_cbranch_vccz .LBB0_14
; %bb.13:
	s_mov_b64 s[6:7], -1
	v_mov_b64_e32 v[0:1], 0
	s_and_b64 exec, exec, s[6:7]
	s_cbranch_execnz .LBB0_31
	s_branch .LBB0_39
.LBB0_14:
	v_ashrrev_i32_e32 v0, 31, v5
	v_lshrrev_b32_e32 v0, 21, v0
	v_mov_b32_e32 v1, 0
	v_lshl_add_u64 v[0:1], v[4:5], 0, v[0:1]
	v_ashrrev_i64 v[0:1], 11, v[0:1]
	v_ashrrev_i32_e32 v2, 31, v26
	v_sub_co_u32_e32 v8, vcc, v0, v26
	s_mov_b64 s[6:7], 0
	s_nop 0
	v_subb_co_u32_e32 v9, vcc, v1, v2, vcc
	v_cmp_lt_i64_e32 vcc, 0, v[8:9]
	s_and_saveexec_b64 s[4:5], vcc
	s_cbranch_execz .LBB0_18
; %bb.15:
	v_lshlrev_b32_e32 v2, 4, v22
	v_lshl_add_u32 v14, v26, 11, v2
	v_ashrrev_i32_e32 v2, 31, v24
	v_lshrrev_b32_e32 v2, 26, v2
	v_add_u32_e32 v2, v24, v2
	v_ashrrev_i32_e32 v2, 6, v2
	v_mov_b32_e32 v3, 0xfffff800
	v_lshl_add_u32 v6, v2, 11, v3
	v_ashrrev_i32_e32 v15, 31, v14
	v_ashrrev_i32_e32 v7, 31, v6
	s_mov_b64 s[10:11], 0x800
	v_ashrrev_i32_e32 v3, 31, v2
	v_lshl_add_u64 v[6:7], v[6:7], 0, s[10:11]
	v_lshl_add_u64 v[16:17], v[44:45], 0, v[14:15]
.LBB0_16:                               ; =>This Inner Loop Header: Depth=1
	v_lshl_add_u64 v[14:15], v[12:13], 0, v[16:17]
	global_load_dwordx4 v[18:21], v[14:15], off nt
	global_load_dwordx4 v[26:29], v[14:15], off offset:1024 nt
	v_sub_co_u32_e32 v8, vcc, v8, v2
	v_lshl_add_u64 v[14:15], v[10:11], 0, v[16:17]
	s_nop 0
	v_subb_co_u32_e32 v9, vcc, v9, v3, vcc
	v_cmp_gt_i64_e32 vcc, 1, v[8:9]
	v_lshl_add_u64 v[16:17], v[16:17], 0, v[6:7]
	s_or_b64 s[6:7], vcc, s[6:7]
	s_waitcnt vmcnt(1)
	global_store_dwordx4 v[14:15], v[18:21], off nt
	s_waitcnt vmcnt(1)
	global_store_dwordx4 v[14:15], v[26:29], off offset:1024 nt
	s_andn2_b64 exec, exec, s[6:7]
	s_cbranch_execnz .LBB0_16
; %bb.17:
	s_or_b64 exec, exec, s[6:7]
.LBB0_18:
	s_or_b64 exec, exec, s[4:5]
	v_lshlrev_b64 v[16:17], 11, v[0:1]
	v_cmp_ne_u64_e32 vcc, v[4:5], v[16:17]
	s_mov_b64 s[6:7], 0
	v_mov_b64_e32 v[0:1], 0
                                        ; implicit-def: $vgpr25
                                        ; implicit-def: $vgpr26
	s_and_saveexec_b64 s[4:5], vcc
	s_cbranch_execz .LBB0_30
; %bb.19:
	v_sub_co_u32_e32 v0, vcc, v4, v16
	v_mov_b32_e32 v21, 0
	s_nop 0
	v_subb_co_u32_e32 v1, vcc, v5, v17, vcc
	v_ashrrev_i32_e32 v2, 31, v1
	v_lshrrev_b32_e32 v20, 22, v2
	v_lshl_add_u64 v[2:3], v[0:1], 0, v[20:21]
	v_ashrrev_i64 v[18:19], 10, v[2:3]
	v_and_b32_e32 v2, 0xfffffc00, v2
	v_lshl_add_u64 v[6:7], v[2:3], 0, v[16:17]
	v_sub_co_u32_e32 v2, vcc, v0, v2
	s_nop 1
	v_subb_co_u32_e32 v3, vcc, v1, v3, vcc
	v_cmp_lt_i64_e32 vcc, 15, v[2:3]
	s_and_saveexec_b64 s[6:7], vcc
; %bb.20:
	v_and_b32_e32 v20, 15, v4
	v_sub_co_u32_e32 v2, vcc, v2, v20
	v_lshl_add_u64 v[18:19], v[18:19], 0, 1
	s_nop 0
	v_subbrev_co_u32_e32 v3, vcc, 0, v3, vcc
	v_lshl_add_u64 v[6:7], v[2:3], 0, v[6:7]
	v_mov_b64_e32 v[2:3], v[20:21]
; %bb.21:
	s_or_b64 exec, exec, s[6:7]
	v_lshlrev_b32_e32 v4, 6, v8
	v_sub_u32_e32 v4, v22, v4
	v_ashrrev_i32_e32 v5, 31, v4
	v_lshrrev_b32_e32 v5, 26, v5
	v_add_u32_e32 v5, v4, v5
	v_ashrrev_i32_e32 v8, 6, v5
	v_and_b32_e32 v5, 0xffffffc0, v5
	v_sub_u32_e32 v27, v4, v5
	v_lshlrev_b32_e32 v4, 4, v27
	v_lshl_add_u32 v22, v8, 10, v4
	v_ashrrev_i32_e32 v23, 31, v22
	v_sub_co_u32_e32 v0, vcc, v0, v22
	v_ashrrev_i32_e32 v5, 31, v8
	s_nop 0
	v_subb_co_u32_e32 v1, vcc, v1, v23, vcc
	v_sub_co_u32_e32 v4, vcc, v18, v8
	s_nop 1
	v_subb_co_u32_e32 v5, vcc, v19, v5, vcc
	v_cmp_lt_i64_e32 vcc, 15, v[0:1]
	s_and_saveexec_b64 s[6:7], vcc
	s_cbranch_execz .LBB0_25
; %bb.22:
	v_ashrrev_i32_e32 v8, 31, v24
	v_lshrrev_b32_e32 v8, 26, v8
	v_add_u32_e32 v8, v24, v8
	v_ashrrev_i32_e32 v8, 6, v8
	v_lshlrev_b32_e32 v18, 10, v8
	v_add_u32_e32 v14, 0xfffffc00, v18
	v_ashrrev_i32_e32 v15, 31, v14
	s_mov_b64 s[10:11], 0x400
	v_lshl_add_u64 v[20:21], v[14:15], 0, s[10:11]
	v_lshl_add_u64 v[14:15], v[44:45], 0, v[16:17]
	v_ashrrev_i32_e32 v9, 31, v18
	v_ashrrev_i32_e32 v19, 31, v8
	v_lshl_add_u64 v[16:17], v[14:15], 0, v[22:23]
	s_mov_b64 s[10:11], 0
.LBB0_23:                               ; =>This Inner Loop Header: Depth=1
	v_lshl_add_u64 v[14:15], v[12:13], 0, v[16:17]
	global_load_dwordx4 v[28:31], v[14:15], off nt
	v_sub_co_u32_e32 v0, vcc, v0, v18
	v_lshl_add_u64 v[14:15], v[10:11], 0, v[16:17]
	s_nop 0
	v_subb_co_u32_e32 v1, vcc, v1, v9, vcc
	v_sub_co_u32_e32 v4, vcc, v4, v8
	v_lshl_add_u64 v[16:17], v[16:17], 0, v[20:21]
	s_nop 0
	v_subb_co_u32_e32 v5, vcc, v5, v19, vcc
	v_cmp_gt_i64_e32 vcc, 16, v[0:1]
	s_or_b64 s[10:11], vcc, s[10:11]
	s_waitcnt vmcnt(0)
	global_store_dwordx4 v[14:15], v[28:31], off nt
	s_andn2_b64 exec, exec, s[10:11]
	s_cbranch_execnz .LBB0_23
; %bb.24:
	s_or_b64 exec, exec, s[10:11]
.LBB0_25:
	s_or_b64 exec, exec, s[6:7]
	s_mov_b64 s[6:7], 0
	v_cmp_lt_i64_e32 vcc, 0, v[4:5]
	s_and_saveexec_b64 s[10:11], vcc
; %bb.26:
	v_ashrrev_i32_e32 v0, 31, v24
	v_lshrrev_b32_e32 v0, 26, v0
	v_add_u32_e32 v0, v24, v0
	v_ashrrev_i32_e32 v0, 6, v0
	v_sub_co_u32_e32 v4, vcc, v4, v0
; %bb.27:
	s_or_b64 exec, exec, s[10:11]
	v_cmp_ne_u64_e32 vcc, 0, v[2:3]
	v_mov_b64_e32 v[0:1], 0
                                        ; implicit-def: $vgpr25
                                        ; implicit-def: $vgpr26
	s_and_saveexec_b64 s[10:11], vcc
; %bb.28:
	v_lshlrev_b32_e32 v0, 6, v4
	v_sub_u32_e32 v25, v27, v0
	v_ashrrev_i32_e32 v0, 31, v25
	v_lshrrev_b32_e32 v0, 26, v0
	v_add_u32_e32 v0, v25, v0
	s_mov_b64 s[6:7], exec
	v_ashrrev_i32_e32 v26, 6, v0
	v_mov_b64_e32 v[0:1], v[6:7]
; %bb.29:
	s_or_b64 exec, exec, s[10:11]
	s_and_b64 s[6:7], s[6:7], exec
	v_mov_b64_e32 v[4:5], v[2:3]
.LBB0_30:
	s_or_b64 exec, exec, s[4:5]
	s_and_b64 exec, exec, s[6:7]
	s_cbranch_execz .LBB0_39
.LBB0_31:
	v_ashrrev_i32_e32 v2, 31, v5
	v_lshrrev_b32_e32 v2, 23, v2
	v_mov_b32_e32 v3, 0
	v_lshl_add_u64 v[2:3], v[4:5], 0, v[2:3]
	v_ashrrev_i64 v[6:7], 9, v[2:3]
	v_ashrrev_i32_e32 v3, 31, v26
	v_sub_co_u32_e32 v2, vcc, v6, v26
	s_mov_b64 s[6:7], 0
	s_nop 0
	v_subb_co_u32_e32 v3, vcc, v7, v3, vcc
	v_cmp_lt_i64_e32 vcc, 0, v[2:3]
	s_and_saveexec_b64 s[4:5], vcc
	s_cbranch_execz .LBB0_35
; %bb.32:
	v_ashrrev_i32_e32 v14, 31, v24
	v_ashrrev_i32_e32 v8, 31, v25
	v_lshrrev_b32_e32 v14, 26, v14
	v_lshrrev_b32_e32 v8, 26, v8
	v_add_u32_e32 v14, v24, v14
	v_add_u32_e32 v8, v25, v8
	v_ashrrev_i32_e32 v16, 6, v14
	v_mov_b32_e32 v14, 0xfffffe00
	v_and_b32_e32 v8, 0xffffffc0, v8
	v_lshl_add_u32 v14, v16, 9, v14
	v_sub_u32_e32 v8, v25, v8
	v_ashrrev_i32_e32 v15, 31, v14
	s_mov_b64 s[10:11], 0x200
	v_lshl_add_u32 v8, v26, 9, v8
	v_lshl_add_u64 v[18:19], v[14:15], 0, s[10:11]
	v_lshl_add_u64 v[14:15], v[44:45], 0, v[0:1]
	v_ashrrev_i32_e32 v9, 31, v8
	v_ashrrev_i32_e32 v17, 31, v16
	v_lshl_add_u64 v[20:21], v[14:15], 0, v[12:13]
	v_lshl_add_u64 v[22:23], v[14:15], 0, v[10:11]
.LBB0_33:                               ; =>This Inner Loop Header: Depth=1
	v_lshl_add_u64 v[14:15], v[8:9], 0, v[20:21]
	flat_load_ubyte v27, v[14:15] nt
	flat_load_ubyte v28, v[14:15] offset:64 nt
	flat_load_ubyte v29, v[14:15] offset:128 nt
	;; [unrolled: 1-line block ×7, first 2 shown]
	v_sub_co_u32_e32 v2, vcc, v2, v16
	v_lshl_add_u64 v[14:15], v[8:9], 0, v[22:23]
	s_nop 0
	v_subb_co_u32_e32 v3, vcc, v3, v17, vcc
	v_cmp_gt_i64_e32 vcc, 1, v[2:3]
	v_lshl_add_u64 v[20:21], v[20:21], 0, v[18:19]
	v_lshl_add_u64 v[22:23], v[22:23], 0, v[18:19]
	s_or_b64 s[6:7], vcc, s[6:7]
	s_waitcnt vmcnt(0) lgkmcnt(0)
	flat_store_byte v[14:15], v27 nt
	flat_store_byte v[14:15], v28 offset:64 nt
	flat_store_byte v[14:15], v29 offset:128 nt
	;; [unrolled: 1-line block ×7, first 2 shown]
	s_andn2_b64 exec, exec, s[6:7]
	s_cbranch_execnz .LBB0_33
; %bb.34:
	s_or_b64 exec, exec, s[6:7]
.LBB0_35:
	s_or_b64 exec, exec, s[4:5]
	v_lshlrev_b64 v[6:7], 9, v[6:7]
	v_cmp_ne_u64_e32 vcc, v[4:5], v[6:7]
	s_and_b64 exec, exec, vcc
	s_cbranch_execz .LBB0_39
; %bb.36:
	v_lshlrev_b32_e32 v3, 6, v26
	v_sub_u32_e32 v3, v25, v3
	v_lshlrev_b32_e32 v2, 6, v2
	v_sub_u32_e32 v16, v3, v2
	v_ashrrev_i32_e32 v17, 31, v16
	v_lshl_add_u64 v[2:3], v[6:7], 0, v[16:17]
	v_sub_co_u32_e32 v2, vcc, v4, v2
	s_mov_b64 s[4:5], 0
	s_nop 0
	v_subb_co_u32_e32 v3, vcc, v5, v3, vcc
	v_cmp_lt_i64_e32 vcc, 0, v[2:3]
	s_and_b64 exec, exec, vcc
	s_cbranch_execz .LBB0_39
; %bb.37:
	v_ashrrev_i32_e32 v4, 31, v24
	v_lshrrev_b32_e32 v4, 26, v4
	v_add_u32_e32 v4, v24, v4
	v_and_b32_e32 v4, 0xffffffc0, v4
	v_subrev_u32_e32 v8, 64, v4
	v_lshl_add_u64 v[0:1], v[44:45], 0, v[0:1]
	v_ashrrev_i32_e32 v9, 31, v8
	v_lshl_add_u64 v[0:1], v[0:1], 0, v[6:7]
	v_lshl_add_u64 v[8:9], v[8:9], 0, 64
	v_ashrrev_i32_e32 v5, 31, v4
	v_lshl_add_u64 v[0:1], v[0:1], 0, v[16:17]
.LBB0_38:                               ; =>This Inner Loop Header: Depth=1
	v_lshl_add_u64 v[6:7], v[12:13], 0, v[0:1]
	flat_load_ubyte v14, v[6:7] nt
	v_sub_co_u32_e32 v2, vcc, v2, v4
	v_lshl_add_u64 v[6:7], v[10:11], 0, v[0:1]
	s_nop 0
	v_subb_co_u32_e32 v3, vcc, v3, v5, vcc
	v_cmp_gt_i64_e32 vcc, 1, v[2:3]
	v_lshl_add_u64 v[0:1], v[0:1], 0, v[8:9]
	s_or_b64 s[4:5], vcc, s[4:5]
	s_waitcnt vmcnt(0) lgkmcnt(0)
	flat_store_byte v[6:7], v14 nt
	s_andn2_b64 exec, exec, s[4:5]
	s_cbranch_execnz .LBB0_38
.LBB0_39:
	s_or_b64 exec, exec, s[0:1]
                                        ; implicit-def: $vgpr36_vgpr37
                                        ; implicit-def: $vgpr44_vgpr45
                                        ; implicit-def: $vgpr4_vgpr5
                                        ; implicit-def: $vgpr50_vgpr51
                                        ; implicit-def: $vgpr3
                                        ; implicit-def: $vgpr2
                                        ; implicit-def: $vgpr14
                                        ; implicit-def: $vgpr31
                                        ; implicit-def: $vgpr12_vgpr13
                                        ; implicit-def: $vgpr8_vgpr9
.LBB0_40:
	s_andn2_saveexec_b64 s[18:19], s[2:3]
	s_cbranch_execz .LBB0_348
; %bb.41:
	s_load_dword s0, s[8:9], 0x0
	v_mov_b32_e32 v1, 0
	v_lshrrev_b64 v[6:7], 31, v[8:9]
	v_ashrrev_i32_e32 v15, 31, v14
	v_and_b32_e32 v9, 3, v6
	s_waitcnt lgkmcnt(0)
	s_cmp_lt_u32 s12, s0
	s_cselect_b32 s0, 12, 18
	s_add_u32 s0, s8, s0
	s_addc_u32 s1, s9, 0
	global_load_ushort v20, v1, s[0:1]
	s_trap 2
	ds_read_b32 v0, v0
	v_lshrrev_b32_e32 v6, 26, v15
	v_add_u32_e32 v6, v14, v6
	v_and_b32_e32 v6, 0xffffffc0, v6
	v_accvgpr_write_b32 a2, v14
	v_sub_u32_e32 v8, v14, v6
	s_waitcnt lgkmcnt(0)
	v_cmp_gt_i32_e32 vcc, 0, v0
	v_accvgpr_write_b32 a3, v15
	s_mov_b32 s2, 0
	v_mov_b64_e32 v[16:17], 0
	v_cmp_eq_u32_e64 s[0:1], 0, v8
	s_cbranch_vccnz .LBB0_43
; %bb.42:
	s_trap 2
	ds_read_b64 v[6:7], v0
	v_lshlrev_b64 v[14:15], 3, v[0:1]
	v_and_b32_e32 v1, 0xffff, v9
	s_movk_i32 s2, 0xa8
	s_waitcnt lgkmcnt(0)
	v_lshl_add_u64 v[6:7], v[6:7], 0, v[14:15]
	flat_load_dwordx2 v[6:7], v[6:7]
	s_waitcnt vmcnt(0) lgkmcnt(0)
	v_mad_u64_u32 v[6:7], s[2:3], v1, s2, v[6:7]
	flat_load_dwordx2 a[10:11], v[6:7] offset:504
	flat_load_dwordx2 v[14:15], v[6:7] offset:608
	s_mov_b64 s[2:3], 0x1f8
	v_lshl_add_u64 v[6:7], v[6:7], 0, s[2:3]
	v_cndmask_b32_e64 v23, 0, v7, s[0:1]
	v_cndmask_b32_e64 v22, 0, v6, s[0:1]
	s_mov_b32 s2, 1
	s_branch .LBB0_44
.LBB0_43:
	v_mov_b64_e32 v[22:23], v[16:17]
                                        ; implicit-def: $vgpr14_vgpr15
                                        ; implicit-def: $agpr10_agpr11
.LBB0_44:
	s_trap 2
	ds_read_b32 v6, v0
	s_waitcnt lgkmcnt(0)
	v_cmp_gt_i32_e32 vcc, 0, v6
	s_cbranch_vccnz .LBB0_46
; %bb.45:
	s_trap 2
	ds_read_b64 v[16:17], v0
	v_mov_b32_e32 v7, 0
	v_lshlrev_b64 v[6:7], 3, v[6:7]
	v_and_b32_e32 v1, 0xffff, v9
	s_movk_i32 s0, 0xa8
	s_waitcnt lgkmcnt(0)
	v_lshl_add_u64 v[6:7], v[16:17], 0, v[6:7]
	flat_load_dwordx2 v[6:7], v[6:7]
	v_cmp_eq_u32_e32 vcc, 0, v8
	s_waitcnt vmcnt(0) lgkmcnt(0)
	v_mad_u64_u32 v[6:7], s[0:1], v1, s0, v[6:7]
	flat_load_dwordx2 a[12:13], v[6:7]
	flat_load_dwordx2 v[26:27], v[6:7] offset:104
	v_cndmask_b32_e32 v17, 0, v7, vcc
	v_cndmask_b32_e32 v16, 0, v6, vcc
	s_branch .LBB0_47
.LBB0_46:
                                        ; implicit-def: $vgpr26_vgpr27
                                        ; implicit-def: $agpr12_agpr13
.LBB0_47:
	v_accvgpr_read_b32 v7, a3
	v_subrev_u32_e32 v1, 64, v2
	v_accvgpr_read_b32 v6, a2
	v_cmp_le_i32_e32 vcc, v1, v6
	v_mov_b64_e32 v[6:7], 0
	v_cmp_gt_i32_e64 s[0:1], s2, v8
	v_accvgpr_write_b32 a17, v7
	s_and_b64 s[20:21], vcc, s[0:1]
	v_accvgpr_write_b32 a16, v6
                                        ; implicit-def: $agpr14_agpr15
	s_and_saveexec_b64 s[0:1], s[20:21]
	s_cbranch_execz .LBB0_49
; %bb.48:
	flat_load_dwordx2 a[16:17], v[22:23] offset:56
	flat_load_dwordx2 a[14:15], v[22:23] offset:104
.LBB0_49:
	s_or_b64 exec, exec, s[0:1]
	v_accvgpr_read_b32 v9, a3
	v_accvgpr_read_b32 v8, a2
	v_cmp_gt_i32_e64 s[0:1], s2, v8
	v_mov_b64_e32 v[28:29], v[6:7]
                                        ; implicit-def: $vgpr38_vgpr39
	s_and_saveexec_b64 s[2:3], s[0:1]
	s_cbranch_execz .LBB0_51
; %bb.50:
	flat_load_dwordx2 v[28:29], v[16:17] offset:56
	s_waitcnt vmcnt(0) lgkmcnt(0)
	flat_load_dwordx2 v[38:39], v[28:29] sc0 sc1
	s_waitcnt vmcnt(0)
	flat_load_dwordx4 v[6:9], v[16:17] offset:96
.LBB0_51:
	s_or_b64 exec, exec, s[2:3]
	s_waitcnt vmcnt(0)
	v_cmp_ne_u64_e32 vcc, 0, v[4:5]
	v_mov_b64_e32 v[18:19], 0
	s_and_saveexec_b64 s[22:23], vcc
	s_cbranch_execnz .LBB0_55
; %bb.52:
	s_or_b64 exec, exec, s[22:23]
	s_and_saveexec_b64 s[2:3], s[20:21]
	s_cbranch_execnz .LBB0_328
.LBB0_53:
	s_or_b64 exec, exec, s[2:3]
	s_and_saveexec_b64 s[2:3], s[0:1]
	s_cbranch_execnz .LBB0_329
.LBB0_54:
	s_or_b64 exec, exec, s[2:3]
	v_cmp_ne_u32_e32 vcc, 64, v2
	s_and_saveexec_b64 s[0:1], vcc
	s_cbranch_execnz .LBB0_330
	s_branch .LBB0_347
.LBB0_55:
	v_ashrrev_i32_e32 v1, 31, v0
	v_lshrrev_b32_e32 v1, 29, v1
	v_add_u32_e32 v0, v0, v1
	v_ashrrev_i32_e32 v62, 7, v0
	v_lshlrev_b32_e32 v0, 4, v50
	v_accvgpr_write_b32 a6, v16
	v_and_b32_e32 v48, 0x1fffff0, v0
	v_cvt_f64_u32_e32 v[0:1], 0
	v_accvgpr_write_b32 a8, v22
	v_accvgpr_write_b32 a7, v17
	v_ldexp_f64 v[0:1], v[0:1], 32
	v_cvt_f64_u32_e32 v[16:17], v48
	v_accvgpr_write_b32 a9, v23
	v_add_f64 v[22:23], v[0:1], v[16:17]
	v_cmp_ne_u32_e64 s[2:3], v36, v3
	v_cmp_ne_u32_e64 s[4:5], v37, v3
	v_and_b32_e32 v0, 63, v31
	v_ashrrev_i32_e32 v3, 31, v2
	v_cmp_eq_u32_e64 s[12:13], 0, v0
	v_lshrrev_b32_e32 v0, 26, v3
	v_add_u32_e32 v0, v2, v0
	v_accvgpr_read_b32 v17, a3
	v_ashrrev_i32_e32 v0, 6, v0
	v_accvgpr_read_b32 v16, a2
	v_ashrrev_i32_e32 v1, 31, v0
	v_lshlrev_b32_e32 v40, 3, v16
	v_accvgpr_write_b32 a21, v1
	v_ashrrev_i32_e32 v41, 31, v40
	v_accvgpr_write_b32 a20, v0
	v_lshl_add_u64 v[0:1], v[10:11], 0, v[40:41]
	v_accvgpr_write_b32 a23, v1
	v_accvgpr_write_b32 a22, v0
	s_waitcnt lgkmcnt(0)
	v_accvgpr_read_b32 v0, a16
	v_accvgpr_read_b32 v1, a17
	v_cmp_ne_u64_e64 s[14:15], 0, v[0:1]
	v_and_b32_e32 v0, 0x1fffff, v50
	v_accvgpr_write_b32 a4, v20
	v_cmp_ne_u32_sdwa s[26:27], v2, v20 src0_sel:DWORD src1_sel:WORD_0
	v_lshlrev_b32_e32 v20, 7, v0
	v_accvgpr_read_b32 v0, a12
	v_accvgpr_read_b32 v1, a13
	v_lshl_add_u64 v[56:57], v[44:45], 0, v[12:13]
	v_lshl_add_u64 v[0:1], v[16:17], 4, v[0:1]
	v_mov_b32_e32 v51, 0
	s_mov_b32 s28, 0
	v_lshlrev_b32_e32 v42, 3, v2
	v_cmp_ne_u64_e32 vcc, v[12:13], v[10:11]
	s_xor_b64 s[16:17], s[16:17], -1
	v_lshl_add_u64 v[58:59], v[56:57], 0, v[40:41]
	v_accvgpr_write_b32 a25, v1
	v_mov_b64_e32 v[36:37], 0
	v_accvgpr_write_b32 a0, v44
	v_accvgpr_write_b32 a18, v22
	v_mov_b32_e32 v49, v51
	s_mov_b64 s[24:25], 0
	v_cmp_ne_u64_e64 s[6:7], 0, v[28:29]
	v_cmp_ne_u64_e64 s[8:9], 0, v[6:7]
	v_cmp_ne_u32_e64 s[10:11], 64, v2
	v_mov_b32_e32 v30, v31
	s_mov_b32 s29, 1
	v_ashrrev_i32_e32 v43, 31, v42
	s_and_b64 s[30:31], s[16:17], vcc
	v_lshlrev_b64 v[46:47], 4, v[2:3]
	v_lshlrev_b32_e32 v52, 3, v58
	v_lshlrev_b32_e32 v53, 6, v2
	v_lshl_add_u64 v[60:61], v[10:11], 0, v[44:45]
	v_accvgpr_write_b32 a24, v0
	s_movk_i32 s56, 0x2710
	s_mov_b64 s[34:35], 0x7ffffff8
	v_mov_b32_e32 v31, 0
	v_mov_b64_e32 v[18:19], v[36:37]
	v_accvgpr_write_b32 a1, v45
	v_accvgpr_write_b32 a19, v23
	;; [unrolled: 1-line block ×3, first 2 shown]
	s_branch .LBB0_59
.LBB0_56:                               ;   in Loop: Header=BB0_59 Depth=1
	s_or_b64 exec, exec, s[16:17]
	v_lshl_add_u64 v[26:27], v[26:27], 0, 1
.LBB0_57:                               ;   in Loop: Header=BB0_59 Depth=1
	s_or_b64 exec, exec, s[38:39]
.LBB0_58:                               ;   in Loop: Header=BB0_59 Depth=1
	s_or_b64 exec, exec, s[36:37]
	v_lshl_add_u64 v[36:37], v[36:37], 0, v[48:49]
	v_cmp_ge_u64_e32 vcc, v[36:37], v[4:5]
	v_lshl_add_u64 v[56:57], v[56:57], 0, v[48:49]
	v_add_u32_e32 v52, v52, v20
	v_lshl_add_u64 v[60:61], v[60:61], 0, v[48:49]
	s_or_b64 s[24:25], vcc, s[24:25]
	v_lshl_add_u64 v[58:59], v[58:59], 0, v[48:49]
	s_andn2_b64 exec, exec, s[24:25]
	s_cbranch_execz .LBB0_327
.LBB0_59:                               ; =>This Loop Header: Depth=1
                                        ;     Child Loop BB0_68 Depth 2
                                        ;     Child Loop BB0_85 Depth 2
	;; [unrolled: 1-line block ×3, first 2 shown]
                                        ;       Child Loop BB0_130 Depth 3
                                        ;     Child Loop BB0_196 Depth 2
                                        ;     Child Loop BB0_102 Depth 2
	;; [unrolled: 1-line block ×3, first 2 shown]
                                        ;       Child Loop BB0_162 Depth 3
                                        ;     Child Loop BB0_208 Depth 2
                                        ;     Child Loop BB0_120 Depth 2
	;; [unrolled: 1-line block ×9, first 2 shown]
	v_sub_co_u32_e32 v3, vcc, v4, v36
	v_cvt_f64_u32_e32 v[10:11], v3
	s_nop 0
	v_subb_co_u32_e32 v0, vcc, v5, v37, vcc
	v_cvt_f64_u32_e32 v[0:1], v0
	v_ldexp_f64 v[0:1], v[0:1], 32
	v_add_f64 v[0:1], v[0:1], v[10:11]
	v_max_f64 v[10:11], v[22:23], v[22:23]
	v_min_f64 v[0:1], v[10:11], v[0:1]
	v_cvt_i32_f64_e32 v0, v[0:1]
	v_max_i32_e32 v3, 0, v0
	s_and_saveexec_b64 s[16:17], s[2:3]
	s_xor_b64 s[36:37], exec, s[16:17]
	s_cbranch_execz .LBB0_110
; %bb.60:                               ;   in Loop: Header=BB0_59 Depth=1
	v_lshl_add_u64 v[10:11], v[36:37], 0, v[44:45]
	s_and_saveexec_b64 s[16:17], s[4:5]
	s_xor_b64 s[38:39], exec, s[16:17]
	s_cbranch_execz .LBB0_104
; %bb.61:                               ;   in Loop: Header=BB0_59 Depth=1
	s_and_saveexec_b64 s[16:17], s[6:7]
	s_cbranch_execz .LBB0_77
; %bb.62:                               ;   in Loop: Header=BB0_59 Depth=1
	v_lshl_add_u64 v[0:1], v[8:9], 0, 1
	s_waitcnt vmcnt(0) lgkmcnt(0)
	v_lshl_add_u64 v[12:13], v[38:39], 0, 8
	v_cmp_lt_u64_e32 vcc, v[12:13], v[0:1]
	s_and_saveexec_b64 s[40:41], vcc
	s_cbranch_execz .LBB0_74
; %bb.63:                               ;   in Loop: Header=BB0_59 Depth=1
	s_sleep 1
	flat_load_dwordx2 v[38:39], v[28:29] sc1
	v_cmp_eq_u32_e32 vcc, 0, v31
	s_and_saveexec_b64 s[42:43], vcc
	s_cbranch_execz .LBB0_73
; %bb.64:                               ;   in Loop: Header=BB0_59 Depth=1
	v_cndmask_b32_e64 v9, 0, 1, vcc
	s_mov_b64 s[44:45], 0
                                        ; implicit-def: $sgpr46_sgpr47
	s_branch .LBB0_68
.LBB0_65:                               ;   in Loop: Header=BB0_68 Depth=2
	s_or_b64 exec, exec, s[54:55]
	s_orn2_b64 s[52:53], s[52:53], exec
.LBB0_66:                               ;   in Loop: Header=BB0_68 Depth=2
	s_or_b64 exec, exec, s[50:51]
	s_xor_b64 vcc, s[52:53], -1
	s_andn2_b64 s[46:47], s[46:47], exec
	s_and_b64 vcc, vcc, exec
	s_or_b64 s[46:47], s[46:47], vcc
.LBB0_67:                               ;   in Loop: Header=BB0_68 Depth=2
	s_or_b64 exec, exec, s[48:49]
	s_and_b64 vcc, exec, s[46:47]
	s_or_b64 s[44:45], vcc, s[44:45]
	s_andn2_b64 exec, exec, s[44:45]
	s_cbranch_execz .LBB0_72
.LBB0_68:                               ;   Parent Loop BB0_59 Depth=1
                                        ; =>  This Inner Loop Header: Depth=2
	s_waitcnt vmcnt(0) lgkmcnt(0)
	v_lshl_add_u64 v[12:13], v[38:39], 0, 8
	v_cmp_lt_u64_e32 vcc, v[12:13], v[0:1]
	v_mov_b32_e32 v31, 0
	s_or_b64 s[46:47], s[46:47], exec
	s_and_saveexec_b64 s[48:49], vcc
	s_cbranch_execz .LBB0_67
; %bb.69:                               ;   in Loop: Header=BB0_68 Depth=2
	s_sleep 1
	flat_load_dwordx2 v[38:39], v[28:29] sc1
	v_add_u32_e32 v9, 1, v9
	v_cmp_eq_u32_e32 vcc, s56, v9
	s_mov_b64 s[52:53], -1
	v_mov_b32_e32 v31, 0
	s_and_saveexec_b64 s[50:51], vcc
	s_cbranch_execz .LBB0_66
; %bb.70:                               ;   in Loop: Header=BB0_68 Depth=2
	s_trap 2
	ds_read_b64 v[12:13], v0
	v_mov_b32_e32 v9, 0
	v_mov_b32_e32 v31, 0
	s_waitcnt vmcnt(0) lgkmcnt(0)
	flat_load_dword v12, v[12:13] sc0 sc1
	s_waitcnt vmcnt(0) lgkmcnt(0)
	buffer_inv sc0 sc1
	v_cmp_ne_u32_e32 vcc, 0, v12
	s_and_saveexec_b64 s[54:55], vcc
	s_cbranch_execz .LBB0_65
; %bb.71:                               ;   in Loop: Header=BB0_68 Depth=2
	v_mov_b32_e32 v31, 1
	s_xor_b64 s[52:53], exec, -1
	ds_write_b32 v0, v12
	s_trap 2
	s_branch .LBB0_65
.LBB0_72:                               ;   in Loop: Header=BB0_59 Depth=1
	s_or_b64 exec, exec, s[44:45]
.LBB0_73:                               ;   in Loop: Header=BB0_59 Depth=1
	s_or_b64 exec, exec, s[42:43]
.LBB0_74:                               ;   in Loop: Header=BB0_59 Depth=1
	s_or_b64 exec, exec, s[40:41]
	s_and_saveexec_b64 s[40:41], s[8:9]
	s_cbranch_execz .LBB0_76
; %bb.75:                               ;   in Loop: Header=BB0_59 Depth=1
	v_add_u32_e32 v9, 7, v3
	v_ashrrev_i32_e32 v12, 31, v9
	v_lshrrev_b32_e32 v12, 29, v12
	v_add_u32_e32 v9, v9, v12
	v_and_b32_e32 v50, 0x7ffffff8, v8
	v_lshrrev_b32_e32 v9, 3, v9
	v_cmp_eq_u64_e32 vcc, s[34:35], v[50:51]
	v_and_b32_e32 v8, 7, v8
	s_nop 0
	v_cndmask_b32_e32 v9, v9, v62, vcc
	v_lshlrev_b32_e32 v12, 4, v9
	v_ashrrev_i32_e32 v13, 31, v12
	v_mad_u64_u32 v[8:9], vcc, v8, 24, v[6:7]
	flat_store_dwordx2 v[8:9], v[12:13] offset:8 sc0 sc1
	s_waitcnt vmcnt(0)
.LBB0_76:                               ;   in Loop: Header=BB0_59 Depth=1
	s_or_b64 exec, exec, s[40:41]
	v_mov_b64_e32 v[8:9], v[0:1]
.LBB0_77:                               ;   in Loop: Header=BB0_59 Depth=1
	s_or_b64 exec, exec, s[16:17]
	s_and_saveexec_b64 s[16:17], s[10:11]
	s_cbranch_execz .LBB0_96
; %bb.78:                               ;   in Loop: Header=BB0_59 Depth=1
	s_and_saveexec_b64 vcc, s[26:27]
	s_xor_b64 s[40:41], exec, vcc
	s_cbranch_execz .LBB0_93
; %bb.79:                               ;   in Loop: Header=BB0_59 Depth=1
	s_and_saveexec_b64 s[42:43], s[12:13]
	s_cbranch_execz .LBB0_92
; %bb.80:                               ;   in Loop: Header=BB0_59 Depth=1
	s_mov_b64 s[46:47], exec
	v_mbcnt_lo_u32_b32 v0, s46, 0
	v_mbcnt_hi_u32_b32 v0, s47, v0
	v_cmp_eq_u32_e32 vcc, 0, v0
	s_waitcnt lgkmcnt(0)
	s_and_saveexec_b64 s[44:45], vcc
	s_cbranch_execz .LBB0_82
; %bb.81:                               ;   in Loop: Header=BB0_59 Depth=1
	s_bcnt1_i32_b64 vcc_lo, s[46:47]
	v_mov_b32_e32 v50, vcc_lo
	ds_add_u64 v0, v[50:51]
	s_trap 2
.LBB0_82:                               ;   in Loop: Header=BB0_59 Depth=1
	s_or_b64 exec, exec, s[44:45]
	s_trap 2
	ds_read_b64 v[0:1], v0
	v_accvgpr_read_b32 v12, a20
	v_accvgpr_read_b32 v13, a21
	v_lshl_add_u64 v[18:19], v[18:19], 0, v[12:13]
	s_waitcnt lgkmcnt(0)
	v_cmp_lt_u64_e32 vcc, v[0:1], v[18:19]
	s_and_saveexec_b64 s[44:45], vcc
	s_cbranch_execz .LBB0_91
; %bb.83:                               ;   in Loop: Header=BB0_59 Depth=1
	s_mov_b32 s57, 0
	s_mov_b64 s[46:47], 0
                                        ; implicit-def: $sgpr48_sgpr49
                                        ; implicit-def: $sgpr50_sgpr51
	s_branch .LBB0_85
.LBB0_84:                               ;   in Loop: Header=BB0_85 Depth=2
	s_or_b64 exec, exec, s[54:55]
	s_and_b64 vcc, exec, vcc
	s_or_b64 s[46:47], vcc, s[46:47]
	s_andn2_b64 vcc, s[48:49], exec
	s_and_b64 s[48:49], s[50:51], exec
	s_or_b64 s[48:49], vcc, s[48:49]
	s_andn2_b64 exec, exec, s[46:47]
	s_cbranch_execz .LBB0_89
.LBB0_85:                               ;   Parent Loop BB0_59 Depth=1
                                        ; =>  This Inner Loop Header: Depth=2
	s_add_i32 s57, s57, 1
	s_cmpk_lg_i32 s57, 0x2710
	s_cselect_b64 s[52:53], -1, 0
	s_and_b64 vcc, exec, s[52:53]
                                        ; implicit-def: $sgpr54_sgpr55
	s_cbranch_vccnz .LBB0_87
; %bb.86:                               ;   in Loop: Header=BB0_85 Depth=2
	s_trap 2
	ds_read_b64 v[0:1], v0
	s_andn2_b64 s[52:53], s[52:53], exec
	s_mov_b32 s57, 0
	s_mov_b64 s[54:55], -1
	s_waitcnt vmcnt(0) lgkmcnt(0)
	flat_load_dword v0, v[0:1] sc0 sc1
	s_waitcnt vmcnt(0) lgkmcnt(0)
	buffer_inv sc0 sc1
	v_cmp_eq_u32_e32 vcc, 0, v0
	s_and_b64 vcc, vcc, exec
	s_or_b64 s[52:53], s[52:53], vcc
.LBB0_87:                               ;   in Loop: Header=BB0_85 Depth=2
	s_andn2_b64 s[50:51], s[50:51], exec
	s_and_b64 s[54:55], s[54:55], exec
	s_mov_b64 vcc, -1
	s_or_b64 s[50:51], s[50:51], s[54:55]
	s_and_saveexec_b64 s[54:55], s[52:53]
	s_cbranch_execz .LBB0_84
; %bb.88:                               ;   in Loop: Header=BB0_85 Depth=2
	s_sleep 1
	s_trap 2
	ds_read_b64 v[0:1], v0
	s_andn2_b64 s[50:51], s[50:51], exec
	s_waitcnt lgkmcnt(0)
	v_cmp_ge_u64_e32 vcc, v[0:1], v[18:19]
	s_orn2_b64 vcc, vcc, exec
	s_branch .LBB0_84
.LBB0_89:                               ;   in Loop: Header=BB0_59 Depth=1
	s_or_b64 exec, exec, s[46:47]
	s_and_saveexec_b64 vcc, s[48:49]
	s_xor_b64 vcc, exec, vcc
	s_cbranch_execz .LBB0_91
; %bb.90:                               ;   in Loop: Header=BB0_59 Depth=1
	v_mov_b32_e32 v0, 1
	ds_write_b32 v0, v0
	s_trap 2
.LBB0_91:                               ;   in Loop: Header=BB0_59 Depth=1
	s_or_b64 exec, exec, s[44:45]
	;;#ASMSTART
	s_wakeup
	;;#ASMEND
.LBB0_92:                               ;   in Loop: Header=BB0_59 Depth=1
	s_or_b64 exec, exec, s[42:43]
.LBB0_93:                               ;   in Loop: Header=BB0_59 Depth=1
	s_andn2_saveexec_b64 vcc, s[40:41]
	s_cbranch_execz .LBB0_95
; %bb.94:                               ;   in Loop: Header=BB0_59 Depth=1
	s_waitcnt lgkmcnt(0)
	s_barrier
.LBB0_95:                               ;   in Loop: Header=BB0_59 Depth=1
	s_or_b64 exec, exec, vcc
.LBB0_96:                               ;   in Loop: Header=BB0_59 Depth=1
	s_or_b64 exec, exec, s[16:17]
	v_sub_u32_e32 v50, v3, v40
	v_cmp_lt_i32_e32 vcc, 0, v50
	v_accvgpr_read_b32 v0, a2
	s_and_saveexec_b64 s[40:41], vcc
	s_cbranch_execnz .LBB0_124
; %bb.97:                               ;   in Loop: Header=BB0_59 Depth=1
	s_or_b64 exec, exec, s[40:41]
	s_and_saveexec_b64 s[16:17], s[10:11]
	s_cbranch_execnz .LBB0_189
.LBB0_98:                               ;   in Loop: Header=BB0_59 Depth=1
	s_or_b64 exec, exec, s[16:17]
	s_and_saveexec_b64 s[16:17], s[14:15]
	s_cbranch_execz .LBB0_100
.LBB0_99:                               ;   in Loop: Header=BB0_59 Depth=1
	v_accvgpr_read_b32 v10, a14
	v_accvgpr_read_b32 v11, a15
	v_lshl_add_u64 v[10:11], v[10:11], 0, 1
	v_accvgpr_write_b32 a15, v11
	v_accvgpr_read_b32 v12, a16
	v_accvgpr_write_b32 a14, v10
	v_accvgpr_read_b32 v13, a17
	flat_store_dwordx2 v[12:13], v[10:11] sc0 sc1
.LBB0_100:                              ;   in Loop: Header=BB0_59 Depth=1
	s_or_b64 exec, exec, s[16:17]
	v_and_b32_e32 v50, 0x7ffffff8, v26
	v_cmp_eq_u64_e32 vcc, s[34:35], v[50:51]
	v_cmp_gt_i32_e64 s[16:17], v62, v0
	s_and_b64 vcc, vcc, s[16:17]
	s_and_saveexec_b64 s[16:17], vcc
	s_cbranch_execz .LBB0_103
; %bb.101:                              ;   in Loop: Header=BB0_59 Depth=1
	v_and_b32_e32 v1, 7, v26
	v_mul_lo_u32 v12, v1, v62
	v_ashrrev_i32_e32 v13, 31, v12
	v_ashrrev_i32_e32 v1, 31, v0
	v_lshlrev_b64 v[12:13], 4, v[12:13]
	v_accvgpr_read_b32 v17, a13
	v_mov_b32_e32 v10, v51
	v_mov_b32_e32 v11, v26
	v_lshl_add_u64 v[12:13], v[0:1], 4, v[12:13]
	v_accvgpr_read_b32 v16, a12
	v_lshl_add_u64 v[10:11], v[10:11], 0, s[28:29]
	v_lshl_add_u64 v[16:17], v[16:17], 0, v[12:13]
	s_mov_b64 s[40:41], 0
.LBB0_102:                              ;   Parent Loop BB0_59 Depth=1
                                        ; =>  This Inner Loop Header: Depth=2
	v_add_u32_e32 v0, v0, v2
	v_mov_b32_e32 v12, v10
	v_mov_b32_e32 v13, v11
	v_cmp_ge_i32_e32 vcc, v0, v62
	global_store_dwordx4 v[16:17], v[10:13], off
	s_or_b64 s[40:41], vcc, s[40:41]
	v_lshl_add_u64 v[16:17], v[16:17], 0, v[46:47]
	s_andn2_b64 exec, exec, s[40:41]
	s_cbranch_execnz .LBB0_102
.LBB0_103:                              ;   in Loop: Header=BB0_59 Depth=1
	s_or_b64 exec, exec, s[16:17]
	v_lshl_add_u64 v[14:15], v[14:15], 0, 1
	v_lshl_add_u64 v[26:27], v[26:27], 0, 1
                                        ; implicit-def: $vgpr3
                                        ; implicit-def: $vgpr10_vgpr11
.LBB0_104:                              ;   in Loop: Header=BB0_59 Depth=1
	s_andn2_saveexec_b64 s[38:39], s[38:39]
	s_cbranch_execz .LBB0_116
; %bb.105:                              ;   in Loop: Header=BB0_59 Depth=1
	v_sub_u32_e32 v3, v3, v40
	v_cmp_lt_i32_e32 vcc, 0, v3
	s_and_saveexec_b64 s[40:41], vcc
	s_cbranch_execnz .LBB0_156
; %bb.106:                              ;   in Loop: Header=BB0_59 Depth=1
	s_or_b64 exec, exec, s[40:41]
	s_and_saveexec_b64 s[16:17], s[10:11]
	s_cbranch_execnz .LBB0_201
.LBB0_107:                              ;   in Loop: Header=BB0_59 Depth=1
	s_or_b64 exec, exec, s[16:17]
	s_and_saveexec_b64 s[16:17], s[14:15]
	s_cbranch_execz .LBB0_109
.LBB0_108:                              ;   in Loop: Header=BB0_59 Depth=1
	v_accvgpr_read_b32 v0, a14
	v_accvgpr_read_b32 v1, a15
	v_lshl_add_u64 v[0:1], v[0:1], 0, 1
	v_accvgpr_write_b32 a15, v1
	v_accvgpr_read_b32 v10, a16
	v_accvgpr_write_b32 a14, v0
	v_accvgpr_read_b32 v11, a17
	flat_store_dwordx2 v[10:11], v[0:1] sc0 sc1
.LBB0_109:                              ;   in Loop: Header=BB0_59 Depth=1
	s_or_b64 exec, exec, s[16:17]
	v_lshl_add_u64 v[14:15], v[14:15], 0, 1
	s_or_b64 exec, exec, s[38:39]
                                        ; implicit-def: $vgpr3
.LBB0_110:                              ;   in Loop: Header=BB0_59 Depth=1
	s_andn2_saveexec_b64 s[36:37], s[36:37]
	s_cbranch_execz .LBB0_58
.LBB0_111:                              ;   in Loop: Header=BB0_59 Depth=1
	v_add_u32_e32 v0, 7, v3
	v_ashrrev_i32_e32 v1, 31, v0
	v_lshrrev_b32_e32 v1, 29, v1
	v_add_u32_e32 v0, v0, v1
	v_ashrrev_i32_e32 v10, 3, v0
	s_and_saveexec_b64 s[16:17], s[30:31]
	s_xor_b64 s[38:39], exec, s[16:17]
	s_cbranch_execz .LBB0_280
; %bb.112:                              ;   in Loop: Header=BB0_59 Depth=1
	s_and_saveexec_b64 s[16:17], s[6:7]
	s_cbranch_execz .LBB0_217
; %bb.113:                              ;   in Loop: Header=BB0_59 Depth=1
	v_lshl_add_u64 v[0:1], v[8:9], 0, 1
	s_waitcnt vmcnt(0) lgkmcnt(0)
	v_lshl_add_u64 v[12:13], v[38:39], 0, 8
	v_cmp_lt_u64_e32 vcc, v[12:13], v[0:1]
	s_and_saveexec_b64 s[40:41], vcc
	s_cbranch_execz .LBB0_214
; %bb.114:                              ;   in Loop: Header=BB0_59 Depth=1
	s_sleep 1
	flat_load_dwordx2 v[38:39], v[28:29] sc1
	v_cmp_eq_u32_e32 vcc, 0, v31
	s_and_saveexec_b64 s[42:43], vcc
	s_cbranch_execz .LBB0_213
; %bb.115:                              ;   in Loop: Header=BB0_59 Depth=1
	v_cndmask_b32_e64 v9, 0, 1, vcc
	s_mov_b64 s[44:45], 0
                                        ; implicit-def: $sgpr46_sgpr47
	s_branch .LBB0_120
.LBB0_116:                              ;   in Loop: Header=BB0_59 Depth=1
	s_or_b64 exec, exec, s[38:39]
                                        ; implicit-def: $vgpr3
	s_andn2_saveexec_b64 s[36:37], s[36:37]
	s_cbranch_execz .LBB0_58
	s_branch .LBB0_111
.LBB0_117:                              ;   in Loop: Header=BB0_120 Depth=2
	s_or_b64 exec, exec, s[54:55]
	s_orn2_b64 s[52:53], s[52:53], exec
.LBB0_118:                              ;   in Loop: Header=BB0_120 Depth=2
	s_or_b64 exec, exec, s[50:51]
	s_xor_b64 vcc, s[52:53], -1
	s_andn2_b64 s[46:47], s[46:47], exec
	s_and_b64 vcc, vcc, exec
	s_or_b64 s[46:47], s[46:47], vcc
.LBB0_119:                              ;   in Loop: Header=BB0_120 Depth=2
	s_or_b64 exec, exec, s[48:49]
	s_and_b64 vcc, exec, s[46:47]
	s_or_b64 s[44:45], vcc, s[44:45]
	s_andn2_b64 exec, exec, s[44:45]
	s_cbranch_execz .LBB0_212
.LBB0_120:                              ;   Parent Loop BB0_59 Depth=1
                                        ; =>  This Inner Loop Header: Depth=2
	s_waitcnt vmcnt(0) lgkmcnt(0)
	v_lshl_add_u64 v[12:13], v[38:39], 0, 8
	v_cmp_lt_u64_e32 vcc, v[12:13], v[0:1]
	v_mov_b32_e32 v31, 0
	s_or_b64 s[46:47], s[46:47], exec
	s_and_saveexec_b64 s[48:49], vcc
	s_cbranch_execz .LBB0_119
; %bb.121:                              ;   in Loop: Header=BB0_120 Depth=2
	s_sleep 1
	flat_load_dwordx2 v[38:39], v[28:29] sc1
	v_add_u32_e32 v9, 1, v9
	v_cmp_eq_u32_e32 vcc, s56, v9
	s_mov_b64 s[52:53], -1
	v_mov_b32_e32 v31, 0
	s_and_saveexec_b64 s[50:51], vcc
	s_cbranch_execz .LBB0_118
; %bb.122:                              ;   in Loop: Header=BB0_120 Depth=2
	s_trap 2
	ds_read_b64 v[12:13], v0
	v_mov_b32_e32 v9, 0
	v_mov_b32_e32 v31, 0
	s_waitcnt vmcnt(0) lgkmcnt(0)
	flat_load_dword v11, v[12:13] sc0 sc1
	s_waitcnt vmcnt(0) lgkmcnt(0)
	buffer_inv sc0 sc1
	v_cmp_ne_u32_e32 vcc, 0, v11
	s_and_saveexec_b64 s[54:55], vcc
	s_cbranch_execz .LBB0_117
; %bb.123:                              ;   in Loop: Header=BB0_120 Depth=2
	v_mov_b32_e32 v31, 1
	s_xor_b64 s[52:53], exec, -1
	ds_write_b32 v0, v11
	s_trap 2
	s_branch .LBB0_117
.LBB0_124:                              ;   in Loop: Header=BB0_59 Depth=1
	v_accvgpr_read_b32 v0, a22
	v_accvgpr_read_b32 v1, a23
	v_lshl_add_u64 v[20:21], v[0:1], 0, v[10:11]
	v_and_b32_e32 v0, 7, v14
	v_mul_lo_u32 v0, v0, v62
	v_accvgpr_read_b32 v10, a10
	v_ashrrev_i32_e32 v1, 31, v0
	v_accvgpr_read_b32 v11, a11
	v_lshl_add_u64 v[44:45], v[0:1], 4, v[10:11]
	v_and_b32_e32 v0, 7, v26
	v_mul_lo_u32 v0, v0, v62
	v_accvgpr_read_b32 v10, a12
	v_ashrrev_i32_e32 v1, 31, v0
	v_accvgpr_read_b32 v11, a13
	v_lshl_add_u64 v[16:17], v[0:1], 4, v[10:11]
	v_mov_b32_e32 v0, v51
	v_mov_b32_e32 v1, v26
	v_add_u32_e32 v24, 1, v14
	v_lshl_add_u64 v[54:55], v[0:1], 0, s[28:29]
	s_mov_b64 s[42:43], 0
	v_accvgpr_read_b32 v0, a2
	s_branch .LBB0_126
.LBB0_125:                              ;   in Loop: Header=BB0_126 Depth=2
	v_sub_u32_e32 v50, v50, v42
	v_cmp_gt_i32_e32 vcc, 1, v50
	v_lshl_add_u64 v[20:21], v[20:21], 0, v[42:43]
	s_or_b64 s[42:43], vcc, s[42:43]
	v_add_u32_e32 v0, v0, v2
	s_andn2_b64 exec, exec, s[42:43]
	s_cbranch_execz .LBB0_188
.LBB0_126:                              ;   Parent Loop BB0_59 Depth=1
                                        ; =>  This Loop Header: Depth=2
                                        ;       Child Loop BB0_130 Depth 3
	v_ashrrev_i32_e32 v1, 31, v0
	v_lshl_add_u64 v[32:33], v[0:1], 4, v[44:45]
	global_load_dwordx4 v[10:13], v[32:33], off nt
	v_cmp_eq_u32_e32 vcc, 0, v31
	s_and_saveexec_b64 s[44:45], vcc
	s_cbranch_execz .LBB0_138
; %bb.127:                              ;   in Loop: Header=BB0_126 Depth=2
	s_waitcnt vmcnt(0)
	v_cmp_ne_u32_e32 vcc, v24, v11
	v_cmp_ne_u32_e64 s[16:17], v24, v13
	s_or_b64 s[16:17], vcc, s[16:17]
	v_mov_b32_e32 v31, 0
	s_and_saveexec_b64 s[46:47], s[16:17]
	s_cbranch_execz .LBB0_137
; %bb.128:                              ;   in Loop: Header=BB0_126 Depth=2
	s_mov_b32 s52, 1
	s_mov_b64 s[48:49], 0
	v_mov_b32_e32 v31, 0
	s_branch .LBB0_130
.LBB0_129:                              ;   in Loop: Header=BB0_130 Depth=3
	s_or_b64 exec, exec, s[50:51]
	s_and_b64 s[16:17], exec, s[16:17]
	s_or_b64 s[48:49], s[16:17], s[48:49]
	s_andn2_b64 exec, exec, s[48:49]
	s_cbranch_execz .LBB0_136
.LBB0_130:                              ;   Parent Loop BB0_59 Depth=1
                                        ;     Parent Loop BB0_126 Depth=2
                                        ; =>    This Inner Loop Header: Depth=3
	global_load_dwordx4 v[10:13], v[32:33], off nt
	s_add_i32 s52, s52, 1
	s_cmpk_lg_i32 s52, 0x2710
	s_cbranch_scc1 .LBB0_134
; %bb.131:                              ;   in Loop: Header=BB0_130 Depth=3
	s_trap 2
	ds_read_b64 v[22:23], v0
	s_waitcnt vmcnt(0) lgkmcnt(0)
	flat_load_dword v3, v[22:23] sc0 sc1
	s_waitcnt vmcnt(0) lgkmcnt(0)
	buffer_inv sc0 sc1
	v_cmp_ne_u32_e32 vcc, 0, v3
	s_and_saveexec_b64 s[16:17], vcc
	s_cbranch_execz .LBB0_133
; %bb.132:                              ;   in Loop: Header=BB0_130 Depth=3
	v_mov_b32_e32 v31, 1
	ds_write_b32 v0, v3
	s_trap 2
.LBB0_133:                              ;   in Loop: Header=BB0_130 Depth=3
	s_or_b64 exec, exec, s[16:17]
	s_mov_b32 s52, 0
	v_mov_b32_e32 v3, v31
	v_cmp_eq_u32_e32 vcc, 0, v3
	s_mov_b64 s[16:17], -1
	s_and_saveexec_b64 s[50:51], vcc
	s_cbranch_execz .LBB0_129
	s_branch .LBB0_135
.LBB0_134:                              ;   in Loop: Header=BB0_130 Depth=3
	v_mov_b32_e32 v3, 0
	v_cmp_eq_u32_e32 vcc, 0, v3
	s_mov_b64 s[16:17], -1
	s_and_saveexec_b64 s[50:51], vcc
	s_cbranch_execz .LBB0_129
.LBB0_135:                              ;   in Loop: Header=BB0_130 Depth=3
	s_waitcnt vmcnt(0)
	v_cmp_eq_u32_e32 vcc, v24, v11
	v_cmp_eq_u32_e64 s[16:17], v24, v13
	s_and_b64 s[16:17], vcc, s[16:17]
	s_orn2_b64 s[16:17], s[16:17], exec
	s_branch .LBB0_129
.LBB0_136:                              ;   in Loop: Header=BB0_126 Depth=2
	s_or_b64 exec, exec, s[48:49]
.LBB0_137:                              ;   in Loop: Header=BB0_126 Depth=2
	s_or_b64 exec, exec, s[46:47]
.LBB0_138:                              ;   in Loop: Header=BB0_126 Depth=2
	s_or_b64 exec, exec, s[44:45]
	v_cmp_lt_u32_e32 vcc, 7, v50
	v_lshl_add_u64 v[22:23], v[0:1], 4, v[16:17]
	s_waitcnt vmcnt(0)
	v_or_b32_e32 v32, v10, v54
	v_or_b32_e32 v34, v12, v54
	v_mov_b32_e32 v33, v55
	v_mov_b32_e32 v35, v55
	v_cndmask_b32_e64 v1, 0, 1, vcc
	global_store_dwordx4 v[22:23], v[32:35], off
	;;#ASMSTART
	;;#ASMEND
	v_mov_b32_e32 v3, v12
	v_cmp_ne_u32_e64 s[16:17], 0, v1
	s_cmp_lg_u64 s[16:17], exec
	s_mov_b64 s[16:17], -1
	s_cbranch_scc0 .LBB0_148
; %bb.139:                              ;   in Loop: Header=BB0_126 Depth=2
	v_cmp_ne_u32_e64 s[16:17], 1, v50
	flat_store_byte v[20:21], v10
	s_and_saveexec_b64 s[44:45], s[16:17]
	s_cbranch_execnz .LBB0_150
; %bb.140:                              ;   in Loop: Header=BB0_126 Depth=2
	s_or_b64 exec, exec, s[44:45]
	v_cmp_lt_u32_e64 s[16:17], 2, v50
	s_and_saveexec_b64 s[44:45], s[16:17]
	s_cbranch_execnz .LBB0_151
.LBB0_141:                              ;   in Loop: Header=BB0_126 Depth=2
	s_or_b64 exec, exec, s[44:45]
	v_cmp_lt_u32_e64 s[16:17], 3, v50
	s_and_saveexec_b64 s[44:45], s[16:17]
	s_cbranch_execnz .LBB0_152
.LBB0_142:                              ;   in Loop: Header=BB0_126 Depth=2
	s_or_b64 exec, exec, s[44:45]
	v_cmp_lt_u32_e64 s[16:17], 4, v50
	s_and_saveexec_b64 s[44:45], s[16:17]
	s_cbranch_execnz .LBB0_153
.LBB0_143:                              ;   in Loop: Header=BB0_126 Depth=2
	s_or_b64 exec, exec, s[44:45]
	v_cmp_lt_u32_e64 s[16:17], 5, v50
	s_and_saveexec_b64 s[44:45], s[16:17]
	s_cbranch_execnz .LBB0_154
.LBB0_144:                              ;   in Loop: Header=BB0_126 Depth=2
	s_or_b64 exec, exec, s[44:45]
	v_cmp_lt_u32_e64 s[16:17], 6, v50
	s_and_saveexec_b64 s[44:45], s[16:17]
	s_cbranch_execnz .LBB0_155
.LBB0_145:                              ;   in Loop: Header=BB0_126 Depth=2
	s_or_b64 exec, exec, s[44:45]
	s_and_saveexec_b64 s[16:17], vcc
	s_cbranch_execz .LBB0_147
.LBB0_146:                              ;   in Loop: Header=BB0_126 Depth=2
	v_lshrrev_b32_e32 v1, 24, v3
	flat_store_byte v[20:21], v1 offset:7
.LBB0_147:                              ;   in Loop: Header=BB0_126 Depth=2
	s_or_b64 exec, exec, s[16:17]
	s_mov_b64 s[16:17], 0
.LBB0_148:                              ;   in Loop: Header=BB0_126 Depth=2
	s_and_b64 vcc, exec, s[16:17]
	s_cbranch_vccz .LBB0_125
; %bb.149:                              ;   in Loop: Header=BB0_126 Depth=2
	v_or_b32_e32 v11, 0, v3
	global_store_dwordx2 v[20:21], v[10:11], off
	s_branch .LBB0_125
.LBB0_150:                              ;   in Loop: Header=BB0_126 Depth=2
	v_lshrrev_b32_e32 v1, 8, v10
	flat_store_byte v[20:21], v1 offset:1
	s_or_b64 exec, exec, s[44:45]
	v_cmp_lt_u32_e64 s[16:17], 2, v50
	s_and_saveexec_b64 s[44:45], s[16:17]
	s_cbranch_execz .LBB0_141
.LBB0_151:                              ;   in Loop: Header=BB0_126 Depth=2
	flat_store_byte_d16_hi v[20:21], v10 offset:2
	s_or_b64 exec, exec, s[44:45]
	v_cmp_lt_u32_e64 s[16:17], 3, v50
	s_and_saveexec_b64 s[44:45], s[16:17]
	s_cbranch_execz .LBB0_142
.LBB0_152:                              ;   in Loop: Header=BB0_126 Depth=2
	v_lshrrev_b32_e32 v1, 24, v10
	flat_store_byte v[20:21], v1 offset:3
	s_or_b64 exec, exec, s[44:45]
	v_cmp_lt_u32_e64 s[16:17], 4, v50
	s_and_saveexec_b64 s[44:45], s[16:17]
	s_cbranch_execz .LBB0_143
.LBB0_153:                              ;   in Loop: Header=BB0_126 Depth=2
	flat_store_byte v[20:21], v12 offset:4
	s_or_b64 exec, exec, s[44:45]
	v_cmp_lt_u32_e64 s[16:17], 5, v50
	s_and_saveexec_b64 s[44:45], s[16:17]
	s_cbranch_execz .LBB0_144
.LBB0_154:                              ;   in Loop: Header=BB0_126 Depth=2
	v_lshrrev_b32_e32 v1, 8, v3
	flat_store_byte v[20:21], v1 offset:5
	s_or_b64 exec, exec, s[44:45]
	v_cmp_lt_u32_e64 s[16:17], 6, v50
	s_and_saveexec_b64 s[44:45], s[16:17]
	s_cbranch_execz .LBB0_145
.LBB0_155:                              ;   in Loop: Header=BB0_126 Depth=2
	flat_store_byte_d16_hi v[20:21], v3 offset:6
	s_or_b64 exec, exec, s[44:45]
	s_and_saveexec_b64 s[16:17], vcc
	s_cbranch_execnz .LBB0_146
	s_branch .LBB0_147
.LBB0_156:                              ;   in Loop: Header=BB0_59 Depth=1
	v_accvgpr_read_b32 v0, a22
	v_accvgpr_read_b32 v1, a23
	v_lshl_add_u64 v[0:1], v[0:1], 0, v[10:11]
	v_and_b32_e32 v10, 7, v14
	v_mul_lo_u32 v10, v10, v62
	v_accvgpr_read_b32 v13, a11
	v_ashrrev_i32_e32 v11, 31, v10
	v_accvgpr_read_b32 v12, a10
	v_lshl_add_u64 v[16:17], v[10:11], 4, v[12:13]
	v_add_u32_e32 v24, 1, v14
	s_mov_b64 s[42:43], 0
	v_accvgpr_read_b32 v20, a2
	s_branch .LBB0_158
.LBB0_157:                              ;   in Loop: Header=BB0_158 Depth=2
	v_sub_u32_e32 v3, v3, v42
	v_cmp_gt_i32_e32 vcc, 1, v3
	v_lshl_add_u64 v[0:1], v[0:1], 0, v[42:43]
	s_or_b64 s[42:43], vcc, s[42:43]
	v_add_u32_e32 v20, v20, v2
	s_andn2_b64 exec, exec, s[42:43]
	s_cbranch_execz .LBB0_200
.LBB0_158:                              ;   Parent Loop BB0_59 Depth=1
                                        ; =>  This Loop Header: Depth=2
                                        ;       Child Loop BB0_162 Depth 3
	v_ashrrev_i32_e32 v21, 31, v20
	v_lshl_add_u64 v[54:55], v[20:21], 4, v[16:17]
	global_load_dwordx4 v[10:13], v[54:55], off nt
	v_cmp_eq_u32_e32 vcc, 0, v31
	s_and_saveexec_b64 s[44:45], vcc
	s_cbranch_execz .LBB0_170
; %bb.159:                              ;   in Loop: Header=BB0_158 Depth=2
	s_waitcnt vmcnt(0)
	v_cmp_ne_u32_e32 vcc, v24, v11
	v_cmp_ne_u32_e64 s[16:17], v24, v13
	s_or_b64 s[16:17], vcc, s[16:17]
	v_mov_b32_e32 v31, 0
	s_and_saveexec_b64 s[46:47], s[16:17]
	s_cbranch_execz .LBB0_169
; %bb.160:                              ;   in Loop: Header=BB0_158 Depth=2
	s_mov_b32 s52, 1
	s_mov_b64 s[48:49], 0
	v_mov_b32_e32 v31, 0
	s_branch .LBB0_162
.LBB0_161:                              ;   in Loop: Header=BB0_162 Depth=3
	s_or_b64 exec, exec, s[50:51]
	s_and_b64 s[16:17], exec, s[16:17]
	s_or_b64 s[48:49], s[16:17], s[48:49]
	s_andn2_b64 exec, exec, s[48:49]
	s_cbranch_execz .LBB0_168
.LBB0_162:                              ;   Parent Loop BB0_59 Depth=1
                                        ;     Parent Loop BB0_158 Depth=2
                                        ; =>    This Inner Loop Header: Depth=3
	global_load_dwordx4 v[10:13], v[54:55], off nt
	s_add_i32 s52, s52, 1
	s_cmpk_lg_i32 s52, 0x2710
	s_cbranch_scc1 .LBB0_166
; %bb.163:                              ;   in Loop: Header=BB0_162 Depth=3
	s_trap 2
	ds_read_b64 v[22:23], v0
	s_waitcnt vmcnt(0) lgkmcnt(0)
	flat_load_dword v21, v[22:23] sc0 sc1
	s_waitcnt vmcnt(0) lgkmcnt(0)
	buffer_inv sc0 sc1
	v_cmp_ne_u32_e32 vcc, 0, v21
	s_and_saveexec_b64 s[16:17], vcc
	s_cbranch_execz .LBB0_165
; %bb.164:                              ;   in Loop: Header=BB0_162 Depth=3
	v_mov_b32_e32 v31, 1
	ds_write_b32 v0, v21
	s_trap 2
.LBB0_165:                              ;   in Loop: Header=BB0_162 Depth=3
	s_or_b64 exec, exec, s[16:17]
	s_mov_b32 s52, 0
	v_mov_b32_e32 v21, v31
	v_cmp_eq_u32_e32 vcc, 0, v21
	s_mov_b64 s[16:17], -1
	s_and_saveexec_b64 s[50:51], vcc
	s_cbranch_execz .LBB0_161
	s_branch .LBB0_167
.LBB0_166:                              ;   in Loop: Header=BB0_162 Depth=3
	v_mov_b32_e32 v21, 0
	v_cmp_eq_u32_e32 vcc, 0, v21
	s_mov_b64 s[16:17], -1
	s_and_saveexec_b64 s[50:51], vcc
	s_cbranch_execz .LBB0_161
.LBB0_167:                              ;   in Loop: Header=BB0_162 Depth=3
	s_waitcnt vmcnt(0)
	v_cmp_eq_u32_e32 vcc, v24, v11
	v_cmp_eq_u32_e64 s[16:17], v24, v13
	s_and_b64 s[16:17], vcc, s[16:17]
	s_orn2_b64 s[16:17], s[16:17], exec
	s_branch .LBB0_161
.LBB0_168:                              ;   in Loop: Header=BB0_158 Depth=2
	s_or_b64 exec, exec, s[48:49]
.LBB0_169:                              ;   in Loop: Header=BB0_158 Depth=2
	s_or_b64 exec, exec, s[46:47]
.LBB0_170:                              ;   in Loop: Header=BB0_158 Depth=2
	s_or_b64 exec, exec, s[44:45]
	v_cmp_lt_u32_e32 vcc, 7, v3
	s_waitcnt vmcnt(0)
	v_mov_b32_e32 v11, v12
	v_cndmask_b32_e64 v13, 0, 1, vcc
	;;#ASMSTART
	;;#ASMEND
	s_nop 0
	v_cmp_ne_u32_e64 s[16:17], 0, v13
	s_cmp_lg_u64 s[16:17], exec
	s_mov_b64 s[16:17], -1
	s_cbranch_scc0 .LBB0_180
; %bb.171:                              ;   in Loop: Header=BB0_158 Depth=2
	v_cmp_ne_u32_e64 s[16:17], 1, v3
	flat_store_byte v[0:1], v10
	s_and_saveexec_b64 s[44:45], s[16:17]
	s_cbranch_execnz .LBB0_182
; %bb.172:                              ;   in Loop: Header=BB0_158 Depth=2
	s_or_b64 exec, exec, s[44:45]
	v_cmp_lt_u32_e64 s[16:17], 2, v3
	s_and_saveexec_b64 s[44:45], s[16:17]
	s_cbranch_execnz .LBB0_183
.LBB0_173:                              ;   in Loop: Header=BB0_158 Depth=2
	s_or_b64 exec, exec, s[44:45]
	v_cmp_lt_u32_e64 s[16:17], 3, v3
	s_and_saveexec_b64 s[44:45], s[16:17]
	s_cbranch_execnz .LBB0_184
.LBB0_174:                              ;   in Loop: Header=BB0_158 Depth=2
	s_or_b64 exec, exec, s[44:45]
	v_cmp_lt_u32_e64 s[16:17], 4, v3
	s_and_saveexec_b64 s[44:45], s[16:17]
	s_cbranch_execnz .LBB0_185
.LBB0_175:                              ;   in Loop: Header=BB0_158 Depth=2
	s_or_b64 exec, exec, s[44:45]
	v_cmp_lt_u32_e64 s[16:17], 5, v3
	s_and_saveexec_b64 s[44:45], s[16:17]
	s_cbranch_execnz .LBB0_186
.LBB0_176:                              ;   in Loop: Header=BB0_158 Depth=2
	s_or_b64 exec, exec, s[44:45]
	v_cmp_lt_u32_e64 s[16:17], 6, v3
	s_and_saveexec_b64 s[44:45], s[16:17]
	s_cbranch_execnz .LBB0_187
.LBB0_177:                              ;   in Loop: Header=BB0_158 Depth=2
	s_or_b64 exec, exec, s[44:45]
	s_and_saveexec_b64 s[16:17], vcc
	s_cbranch_execz .LBB0_179
.LBB0_178:                              ;   in Loop: Header=BB0_158 Depth=2
	v_lshrrev_b32_e32 v12, 24, v11
	flat_store_byte v[0:1], v12 offset:7
.LBB0_179:                              ;   in Loop: Header=BB0_158 Depth=2
	s_or_b64 exec, exec, s[16:17]
	s_mov_b64 s[16:17], 0
.LBB0_180:                              ;   in Loop: Header=BB0_158 Depth=2
	s_and_b64 vcc, exec, s[16:17]
	s_cbranch_vccz .LBB0_157
; %bb.181:                              ;   in Loop: Header=BB0_158 Depth=2
	global_store_dwordx2 v[0:1], v[10:11], off
	s_branch .LBB0_157
.LBB0_182:                              ;   in Loop: Header=BB0_158 Depth=2
	v_lshrrev_b32_e32 v13, 8, v10
	flat_store_byte v[0:1], v13 offset:1
	s_or_b64 exec, exec, s[44:45]
	v_cmp_lt_u32_e64 s[16:17], 2, v3
	s_and_saveexec_b64 s[44:45], s[16:17]
	s_cbranch_execz .LBB0_173
.LBB0_183:                              ;   in Loop: Header=BB0_158 Depth=2
	flat_store_byte_d16_hi v[0:1], v10 offset:2
	s_or_b64 exec, exec, s[44:45]
	v_cmp_lt_u32_e64 s[16:17], 3, v3
	s_and_saveexec_b64 s[44:45], s[16:17]
	s_cbranch_execz .LBB0_174
.LBB0_184:                              ;   in Loop: Header=BB0_158 Depth=2
	v_lshrrev_b32_e32 v13, 24, v10
	flat_store_byte v[0:1], v13 offset:3
	s_or_b64 exec, exec, s[44:45]
	v_cmp_lt_u32_e64 s[16:17], 4, v3
	s_and_saveexec_b64 s[44:45], s[16:17]
	s_cbranch_execz .LBB0_175
.LBB0_185:                              ;   in Loop: Header=BB0_158 Depth=2
	flat_store_byte v[0:1], v12 offset:4
	s_or_b64 exec, exec, s[44:45]
	v_cmp_lt_u32_e64 s[16:17], 5, v3
	s_and_saveexec_b64 s[44:45], s[16:17]
	s_cbranch_execz .LBB0_176
.LBB0_186:                              ;   in Loop: Header=BB0_158 Depth=2
	v_lshrrev_b32_e32 v12, 8, v11
	flat_store_byte v[0:1], v12 offset:5
	s_or_b64 exec, exec, s[44:45]
	v_cmp_lt_u32_e64 s[16:17], 6, v3
	s_and_saveexec_b64 s[44:45], s[16:17]
	s_cbranch_execz .LBB0_177
.LBB0_187:                              ;   in Loop: Header=BB0_158 Depth=2
	flat_store_byte_d16_hi v[0:1], v11 offset:6
	s_or_b64 exec, exec, s[44:45]
	s_and_saveexec_b64 s[16:17], vcc
	s_cbranch_execnz .LBB0_178
	s_branch .LBB0_179
.LBB0_188:                              ;   in Loop: Header=BB0_59 Depth=1
	s_or_b64 exec, exec, s[42:43]
	v_accvgpr_read_b32 v45, a1
	v_accvgpr_read_b32 v23, a19
	v_accvgpr_read_b32 v44, a0
	v_accvgpr_read_b32 v22, a18
	v_accvgpr_read_b32 v20, a3
	s_or_b64 exec, exec, s[40:41]
	s_and_saveexec_b64 s[16:17], s[10:11]
	s_cbranch_execz .LBB0_98
.LBB0_189:                              ;   in Loop: Header=BB0_59 Depth=1
	s_and_saveexec_b64 vcc, s[26:27]
	s_xor_b64 s[40:41], exec, vcc
	s_cbranch_execz .LBB0_233
; %bb.190:                              ;   in Loop: Header=BB0_59 Depth=1
	s_and_saveexec_b64 s[42:43], s[12:13]
	s_cbranch_execz .LBB0_232
; %bb.191:                              ;   in Loop: Header=BB0_59 Depth=1
	s_mov_b64 s[46:47], exec
	v_mbcnt_lo_u32_b32 v1, s46, 0
	v_mbcnt_hi_u32_b32 v1, s47, v1
	v_cmp_eq_u32_e32 vcc, 0, v1
	s_waitcnt lgkmcnt(0)
	s_and_saveexec_b64 s[44:45], vcc
	s_cbranch_execz .LBB0_193
; %bb.192:                              ;   in Loop: Header=BB0_59 Depth=1
	s_bcnt1_i32_b64 vcc_lo, s[46:47]
	v_mov_b32_e32 v50, vcc_lo
	ds_add_u64 v0, v[50:51]
	s_trap 2
.LBB0_193:                              ;   in Loop: Header=BB0_59 Depth=1
	s_or_b64 exec, exec, s[44:45]
	s_trap 2
	ds_read_b64 v[10:11], v0
	v_accvgpr_read_b32 v12, a20
	v_accvgpr_read_b32 v13, a21
	v_lshl_add_u64 v[18:19], v[18:19], 0, v[12:13]
	s_waitcnt lgkmcnt(0)
	v_cmp_lt_u64_e32 vcc, v[10:11], v[18:19]
	s_and_saveexec_b64 s[44:45], vcc
	s_cbranch_execz .LBB0_231
; %bb.194:                              ;   in Loop: Header=BB0_59 Depth=1
	s_mov_b32 s57, 0
	s_mov_b64 s[46:47], 0
                                        ; implicit-def: $sgpr48_sgpr49
                                        ; implicit-def: $sgpr50_sgpr51
	s_branch .LBB0_196
.LBB0_195:                              ;   in Loop: Header=BB0_196 Depth=2
	s_or_b64 exec, exec, s[54:55]
	s_and_b64 vcc, exec, vcc
	s_or_b64 s[46:47], vcc, s[46:47]
	s_andn2_b64 vcc, s[48:49], exec
	s_and_b64 s[48:49], s[50:51], exec
	s_or_b64 s[48:49], vcc, s[48:49]
	s_andn2_b64 exec, exec, s[46:47]
	s_cbranch_execz .LBB0_229
.LBB0_196:                              ;   Parent Loop BB0_59 Depth=1
                                        ; =>  This Inner Loop Header: Depth=2
	s_add_i32 s57, s57, 1
	s_cmpk_lg_i32 s57, 0x2710
	s_cselect_b64 s[52:53], -1, 0
	s_and_b64 vcc, exec, s[52:53]
                                        ; implicit-def: $sgpr54_sgpr55
	s_cbranch_vccnz .LBB0_198
; %bb.197:                              ;   in Loop: Header=BB0_196 Depth=2
	s_trap 2
	ds_read_b64 v[10:11], v0
	s_andn2_b64 s[52:53], s[52:53], exec
	s_mov_b32 s57, 0
	s_mov_b64 s[54:55], -1
	s_waitcnt vmcnt(0) lgkmcnt(0)
	flat_load_dword v1, v[10:11] sc0 sc1
	s_waitcnt vmcnt(0) lgkmcnt(0)
	buffer_inv sc0 sc1
	v_cmp_eq_u32_e32 vcc, 0, v1
	s_and_b64 vcc, vcc, exec
	s_or_b64 s[52:53], s[52:53], vcc
.LBB0_198:                              ;   in Loop: Header=BB0_196 Depth=2
	s_andn2_b64 s[50:51], s[50:51], exec
	s_and_b64 s[54:55], s[54:55], exec
	s_mov_b64 vcc, -1
	s_or_b64 s[50:51], s[50:51], s[54:55]
	s_and_saveexec_b64 s[54:55], s[52:53]
	s_cbranch_execz .LBB0_195
; %bb.199:                              ;   in Loop: Header=BB0_196 Depth=2
	s_sleep 1
	s_trap 2
	ds_read_b64 v[10:11], v0
	s_andn2_b64 s[50:51], s[50:51], exec
	s_waitcnt lgkmcnt(0)
	v_cmp_ge_u64_e32 vcc, v[10:11], v[18:19]
	s_orn2_b64 vcc, vcc, exec
	s_branch .LBB0_195
.LBB0_200:                              ;   in Loop: Header=BB0_59 Depth=1
	s_or_b64 exec, exec, s[42:43]
	v_accvgpr_read_b32 v23, a19
	v_accvgpr_read_b32 v22, a18
	;; [unrolled: 1-line block ×3, first 2 shown]
	s_or_b64 exec, exec, s[40:41]
	s_and_saveexec_b64 s[16:17], s[10:11]
	s_cbranch_execz .LBB0_107
.LBB0_201:                              ;   in Loop: Header=BB0_59 Depth=1
	s_and_saveexec_b64 vcc, s[26:27]
	s_xor_b64 s[40:41], exec, vcc
	s_cbranch_execz .LBB0_240
; %bb.202:                              ;   in Loop: Header=BB0_59 Depth=1
	s_and_saveexec_b64 s[42:43], s[12:13]
	s_cbranch_execz .LBB0_239
; %bb.203:                              ;   in Loop: Header=BB0_59 Depth=1
	s_mov_b64 s[46:47], exec
	v_mbcnt_lo_u32_b32 v0, s46, 0
	v_mbcnt_hi_u32_b32 v0, s47, v0
	v_cmp_eq_u32_e32 vcc, 0, v0
	s_waitcnt lgkmcnt(0)
	s_and_saveexec_b64 s[44:45], vcc
	s_cbranch_execz .LBB0_205
; %bb.204:                              ;   in Loop: Header=BB0_59 Depth=1
	s_bcnt1_i32_b64 vcc_lo, s[46:47]
	v_mov_b32_e32 v50, vcc_lo
	ds_add_u64 v0, v[50:51]
	s_trap 2
.LBB0_205:                              ;   in Loop: Header=BB0_59 Depth=1
	s_or_b64 exec, exec, s[44:45]
	s_trap 2
	ds_read_b64 v[0:1], v0
	v_accvgpr_read_b32 v10, a20
	v_accvgpr_read_b32 v11, a21
	v_lshl_add_u64 v[18:19], v[18:19], 0, v[10:11]
	s_waitcnt lgkmcnt(0)
	v_cmp_lt_u64_e32 vcc, v[0:1], v[18:19]
	s_and_saveexec_b64 s[44:45], vcc
	s_cbranch_execz .LBB0_238
; %bb.206:                              ;   in Loop: Header=BB0_59 Depth=1
	s_mov_b32 s57, 0
	s_mov_b64 s[46:47], 0
                                        ; implicit-def: $sgpr48_sgpr49
                                        ; implicit-def: $sgpr50_sgpr51
	s_branch .LBB0_208
.LBB0_207:                              ;   in Loop: Header=BB0_208 Depth=2
	s_or_b64 exec, exec, s[54:55]
	s_and_b64 vcc, exec, vcc
	s_or_b64 s[46:47], vcc, s[46:47]
	s_andn2_b64 vcc, s[48:49], exec
	s_and_b64 s[48:49], s[50:51], exec
	s_or_b64 s[48:49], vcc, s[48:49]
	s_andn2_b64 exec, exec, s[46:47]
	s_cbranch_execz .LBB0_236
.LBB0_208:                              ;   Parent Loop BB0_59 Depth=1
                                        ; =>  This Inner Loop Header: Depth=2
	s_add_i32 s57, s57, 1
	s_cmpk_lg_i32 s57, 0x2710
	s_cselect_b64 s[52:53], -1, 0
	s_and_b64 vcc, exec, s[52:53]
                                        ; implicit-def: $sgpr54_sgpr55
	s_cbranch_vccnz .LBB0_210
; %bb.209:                              ;   in Loop: Header=BB0_208 Depth=2
	s_trap 2
	ds_read_b64 v[0:1], v0
	s_andn2_b64 s[52:53], s[52:53], exec
	s_mov_b32 s57, 0
	s_mov_b64 s[54:55], -1
	s_waitcnt vmcnt(0) lgkmcnt(0)
	flat_load_dword v0, v[0:1] sc0 sc1
	s_waitcnt vmcnt(0) lgkmcnt(0)
	buffer_inv sc0 sc1
	v_cmp_eq_u32_e32 vcc, 0, v0
	s_and_b64 vcc, vcc, exec
	s_or_b64 s[52:53], s[52:53], vcc
.LBB0_210:                              ;   in Loop: Header=BB0_208 Depth=2
	s_andn2_b64 s[50:51], s[50:51], exec
	s_and_b64 s[54:55], s[54:55], exec
	s_mov_b64 vcc, -1
	s_or_b64 s[50:51], s[50:51], s[54:55]
	s_and_saveexec_b64 s[54:55], s[52:53]
	s_cbranch_execz .LBB0_207
; %bb.211:                              ;   in Loop: Header=BB0_208 Depth=2
	s_sleep 1
	s_trap 2
	ds_read_b64 v[0:1], v0
	s_andn2_b64 s[50:51], s[50:51], exec
	s_waitcnt lgkmcnt(0)
	v_cmp_ge_u64_e32 vcc, v[0:1], v[18:19]
	s_orn2_b64 vcc, vcc, exec
	s_branch .LBB0_207
.LBB0_212:                              ;   in Loop: Header=BB0_59 Depth=1
	s_or_b64 exec, exec, s[44:45]
.LBB0_213:                              ;   in Loop: Header=BB0_59 Depth=1
	s_or_b64 exec, exec, s[42:43]
.LBB0_214:                              ;   in Loop: Header=BB0_59 Depth=1
	s_or_b64 exec, exec, s[40:41]
	s_and_saveexec_b64 s[40:41], s[8:9]
	s_cbranch_execz .LBB0_216
; %bb.215:                              ;   in Loop: Header=BB0_59 Depth=1
	v_and_b32_e32 v50, 0x7ffffff8, v8
	v_cmp_eq_u64_e32 vcc, s[34:35], v[50:51]
	v_and_b32_e32 v8, 7, v8
	s_nop 0
	v_cndmask_b32_e32 v9, v10, v62, vcc
	v_lshlrev_b32_e32 v10, 4, v9
	v_ashrrev_i32_e32 v11, 31, v10
	v_mad_u64_u32 v[8:9], vcc, v8, 24, v[6:7]
	flat_store_dwordx2 v[8:9], v[10:11] offset:8 sc0 sc1
	s_waitcnt vmcnt(0)
.LBB0_216:                              ;   in Loop: Header=BB0_59 Depth=1
	s_or_b64 exec, exec, s[40:41]
	v_mov_b64_e32 v[8:9], v[0:1]
.LBB0_217:                              ;   in Loop: Header=BB0_59 Depth=1
	s_or_b64 exec, exec, s[16:17]
	s_and_saveexec_b64 s[16:17], s[10:11]
	s_cbranch_execz .LBB0_250
; %bb.218:                              ;   in Loop: Header=BB0_59 Depth=1
	s_and_saveexec_b64 vcc, s[26:27]
	s_xor_b64 s[40:41], exec, vcc
	s_cbranch_execz .LBB0_247
; %bb.219:                              ;   in Loop: Header=BB0_59 Depth=1
	s_and_saveexec_b64 s[42:43], s[12:13]
	s_cbranch_execz .LBB0_246
; %bb.220:                              ;   in Loop: Header=BB0_59 Depth=1
	s_mov_b64 s[46:47], exec
	v_mbcnt_lo_u32_b32 v0, s46, 0
	v_mbcnt_hi_u32_b32 v0, s47, v0
	v_cmp_eq_u32_e32 vcc, 0, v0
	s_waitcnt lgkmcnt(0)
	s_and_saveexec_b64 s[44:45], vcc
	s_cbranch_execz .LBB0_222
; %bb.221:                              ;   in Loop: Header=BB0_59 Depth=1
	s_bcnt1_i32_b64 vcc_lo, s[46:47]
	v_mov_b32_e32 v50, vcc_lo
	ds_add_u64 v0, v[50:51]
	s_trap 2
.LBB0_222:                              ;   in Loop: Header=BB0_59 Depth=1
	s_or_b64 exec, exec, s[44:45]
	s_trap 2
	ds_read_b64 v[0:1], v0
	v_accvgpr_read_b32 v10, a20
	v_accvgpr_read_b32 v11, a21
	v_lshl_add_u64 v[18:19], v[18:19], 0, v[10:11]
	s_waitcnt lgkmcnt(0)
	v_cmp_lt_u64_e32 vcc, v[0:1], v[18:19]
	s_and_saveexec_b64 s[44:45], vcc
	s_cbranch_execz .LBB0_245
; %bb.223:                              ;   in Loop: Header=BB0_59 Depth=1
	s_mov_b32 s57, 0
	s_mov_b64 s[46:47], 0
                                        ; implicit-def: $sgpr48_sgpr49
                                        ; implicit-def: $sgpr50_sgpr51
	s_branch .LBB0_225
.LBB0_224:                              ;   in Loop: Header=BB0_225 Depth=2
	s_or_b64 exec, exec, s[54:55]
	s_and_b64 vcc, exec, vcc
	s_or_b64 s[46:47], vcc, s[46:47]
	s_andn2_b64 vcc, s[48:49], exec
	s_and_b64 s[48:49], s[50:51], exec
	s_or_b64 s[48:49], vcc, s[48:49]
	s_andn2_b64 exec, exec, s[46:47]
	s_cbranch_execz .LBB0_243
.LBB0_225:                              ;   Parent Loop BB0_59 Depth=1
                                        ; =>  This Inner Loop Header: Depth=2
	s_add_i32 s57, s57, 1
	s_cmpk_lg_i32 s57, 0x2710
	s_cselect_b64 s[52:53], -1, 0
	s_and_b64 vcc, exec, s[52:53]
                                        ; implicit-def: $sgpr54_sgpr55
	s_cbranch_vccnz .LBB0_227
; %bb.226:                              ;   in Loop: Header=BB0_225 Depth=2
	s_trap 2
	ds_read_b64 v[0:1], v0
	s_andn2_b64 s[52:53], s[52:53], exec
	s_mov_b32 s57, 0
	s_mov_b64 s[54:55], -1
	s_waitcnt vmcnt(0) lgkmcnt(0)
	flat_load_dword v0, v[0:1] sc0 sc1
	s_waitcnt vmcnt(0) lgkmcnt(0)
	buffer_inv sc0 sc1
	v_cmp_eq_u32_e32 vcc, 0, v0
	s_and_b64 vcc, vcc, exec
	s_or_b64 s[52:53], s[52:53], vcc
.LBB0_227:                              ;   in Loop: Header=BB0_225 Depth=2
	s_andn2_b64 s[50:51], s[50:51], exec
	s_and_b64 s[54:55], s[54:55], exec
	s_mov_b64 vcc, -1
	s_or_b64 s[50:51], s[50:51], s[54:55]
	s_and_saveexec_b64 s[54:55], s[52:53]
	s_cbranch_execz .LBB0_224
; %bb.228:                              ;   in Loop: Header=BB0_225 Depth=2
	s_sleep 1
	s_trap 2
	ds_read_b64 v[0:1], v0
	s_andn2_b64 s[50:51], s[50:51], exec
	s_waitcnt lgkmcnt(0)
	v_cmp_ge_u64_e32 vcc, v[0:1], v[18:19]
	s_orn2_b64 vcc, vcc, exec
	s_branch .LBB0_224
.LBB0_229:                              ;   in Loop: Header=BB0_59 Depth=1
	s_or_b64 exec, exec, s[46:47]
	s_and_saveexec_b64 vcc, s[48:49]
	s_xor_b64 vcc, exec, vcc
	s_cbranch_execz .LBB0_231
; %bb.230:                              ;   in Loop: Header=BB0_59 Depth=1
	v_mov_b32_e32 v1, 1
	ds_write_b32 v0, v1
	s_trap 2
.LBB0_231:                              ;   in Loop: Header=BB0_59 Depth=1
	s_or_b64 exec, exec, s[44:45]
	;;#ASMSTART
	s_wakeup
	;;#ASMEND
.LBB0_232:                              ;   in Loop: Header=BB0_59 Depth=1
	s_or_b64 exec, exec, s[42:43]
.LBB0_233:                              ;   in Loop: Header=BB0_59 Depth=1
	s_andn2_saveexec_b64 vcc, s[40:41]
	s_cbranch_execz .LBB0_235
; %bb.234:                              ;   in Loop: Header=BB0_59 Depth=1
	s_waitcnt lgkmcnt(0)
	s_barrier
.LBB0_235:                              ;   in Loop: Header=BB0_59 Depth=1
	s_or_b64 exec, exec, vcc
	s_or_b64 exec, exec, s[16:17]
	s_and_saveexec_b64 s[16:17], s[14:15]
	s_cbranch_execnz .LBB0_99
	s_branch .LBB0_100
.LBB0_236:                              ;   in Loop: Header=BB0_59 Depth=1
	s_or_b64 exec, exec, s[46:47]
	s_and_saveexec_b64 vcc, s[48:49]
	s_xor_b64 vcc, exec, vcc
	s_cbranch_execz .LBB0_238
; %bb.237:                              ;   in Loop: Header=BB0_59 Depth=1
	v_mov_b32_e32 v0, 1
	ds_write_b32 v0, v0
	s_trap 2
.LBB0_238:                              ;   in Loop: Header=BB0_59 Depth=1
	s_or_b64 exec, exec, s[44:45]
	;;#ASMSTART
	s_wakeup
	;;#ASMEND
.LBB0_239:                              ;   in Loop: Header=BB0_59 Depth=1
	s_or_b64 exec, exec, s[42:43]
.LBB0_240:                              ;   in Loop: Header=BB0_59 Depth=1
	s_andn2_saveexec_b64 vcc, s[40:41]
	s_cbranch_execz .LBB0_242
; %bb.241:                              ;   in Loop: Header=BB0_59 Depth=1
	s_waitcnt lgkmcnt(0)
	s_barrier
.LBB0_242:                              ;   in Loop: Header=BB0_59 Depth=1
	s_or_b64 exec, exec, vcc
	s_or_b64 exec, exec, s[16:17]
	s_and_saveexec_b64 s[16:17], s[14:15]
	s_cbranch_execnz .LBB0_108
	s_branch .LBB0_109
.LBB0_243:                              ;   in Loop: Header=BB0_59 Depth=1
	s_or_b64 exec, exec, s[46:47]
	s_and_saveexec_b64 vcc, s[48:49]
	s_xor_b64 vcc, exec, vcc
	s_cbranch_execz .LBB0_245
; %bb.244:                              ;   in Loop: Header=BB0_59 Depth=1
	v_mov_b32_e32 v0, 1
	ds_write_b32 v0, v0
	s_trap 2
.LBB0_245:                              ;   in Loop: Header=BB0_59 Depth=1
	s_or_b64 exec, exec, s[44:45]
	;;#ASMSTART
	s_wakeup
	;;#ASMEND
.LBB0_246:                              ;   in Loop: Header=BB0_59 Depth=1
	s_or_b64 exec, exec, s[42:43]
.LBB0_247:                              ;   in Loop: Header=BB0_59 Depth=1
	s_andn2_saveexec_b64 vcc, s[40:41]
	s_cbranch_execz .LBB0_249
; %bb.248:                              ;   in Loop: Header=BB0_59 Depth=1
	s_waitcnt lgkmcnt(0)
	s_barrier
.LBB0_249:                              ;   in Loop: Header=BB0_59 Depth=1
	s_or_b64 exec, exec, vcc
.LBB0_250:                              ;   in Loop: Header=BB0_59 Depth=1
	s_or_b64 exec, exec, s[16:17]
	v_sub_u32_e32 v1, v3, v40
	v_cmp_lt_i32_e32 vcc, 0, v1
	v_accvgpr_read_b32 v0, a2
	s_and_saveexec_b64 s[40:41], vcc
	s_cbranch_execz .LBB0_276
; %bb.251:                              ;   in Loop: Header=BB0_59 Depth=1
	v_and_b32_e32 v0, 7, v26
	v_mul_lo_u32 v12, v0, v62
	v_accvgpr_read_b32 v16, a24
	v_ashrrev_i32_e32 v13, 31, v12
	v_mov_b32_e32 v10, v51
	v_mov_b32_e32 v11, v26
	v_accvgpr_read_b32 v17, a25
	v_lshl_add_u64 v[10:11], v[10:11], 0, s[28:29]
	v_lshl_add_u64 v[12:13], v[12:13], 4, v[16:17]
	s_mov_b64 s[42:43], 0
	v_mov_b64_e32 v[16:17], v[60:61]
	v_mov_b32_e32 v3, v52
	v_mov_b64_e32 v[20:21], v[56:57]
	v_accvgpr_read_b32 v0, a2
	s_branch .LBB0_253
.LBB0_252:                              ;   in Loop: Header=BB0_253 Depth=2
	v_sub_u32_e32 v1, v1, v42
	v_cmp_gt_i32_e32 vcc, 1, v1
	v_add_u32_e32 v0, v0, v2
	v_lshl_add_u64 v[20:21], v[20:21], 0, v[42:43]
	v_add_u32_e32 v3, v3, v53
	v_lshl_add_u64 v[16:17], v[16:17], 0, v[42:43]
	s_or_b64 s[42:43], vcc, s[42:43]
	v_lshl_add_u64 v[12:13], v[12:13], 0, v[46:47]
	s_andn2_b64 exec, exec, s[42:43]
	s_cbranch_execz .LBB0_275
.LBB0_253:                              ;   Parent Loop BB0_59 Depth=1
                                        ; =>  This Inner Loop Header: Depth=2
	v_lshl_add_u64 v[22:23], v[40:41], 0, v[20:21]
	v_and_b32_e32 v32, -4, v22
	v_mov_b32_e32 v33, v23
	global_load_dword v24, v[32:33], off nt
	v_min_u32_e32 v50, 8, v1
	v_and_b32_e32 v54, 3, v22
	v_mov_b32_e32 v55, 0
	v_lshl_add_u64 v[44:45], v[54:55], 0, v[50:51]
	v_cmp_lt_u64_e32 vcc, 4, v[44:45]
	v_mov_b32_e32 v25, 0
	s_and_saveexec_b64 s[16:17], vcc
	s_cbranch_execz .LBB0_255
; %bb.254:                              ;   in Loop: Header=BB0_253 Depth=2
	global_load_dword v25, v[32:33], off offset:4 nt
.LBB0_255:                              ;   in Loop: Header=BB0_253 Depth=2
	s_or_b64 exec, exec, s[16:17]
	v_cmp_lt_u64_e32 vcc, 8, v[44:45]
	s_and_saveexec_b64 s[16:17], vcc
	s_cbranch_execz .LBB0_257
; %bb.256:                              ;   in Loop: Header=BB0_253 Depth=2
	global_load_dword v55, v[32:33], off offset:8 nt
.LBB0_257:                              ;   in Loop: Header=BB0_253 Depth=2
	s_or_b64 exec, exec, s[16:17]
	s_waitcnt vmcnt(0)
	v_alignbit_b32 v54, v25, v24, v3
	v_alignbit_b32 v55, v55, v25, v3
	v_or_b32_e32 v22, v10, v54
	v_or_b32_e32 v24, v10, v55
	v_mov_b32_e32 v23, v11
	v_mov_b32_e32 v25, v11
	v_cmp_lt_u32_e32 vcc, 7, v1
	global_store_dwordx4 v[12:13], v[22:25], off
	v_lshl_add_u64 v[32:33], v[16:17], 0, v[40:41]
	s_nop 0
	v_cndmask_b32_e64 v22, 0, 1, vcc
	;;#ASMSTART
	;;#ASMEND
	s_nop 0
	v_cmp_ne_u32_e64 s[16:17], 0, v22
	s_cmp_lg_u64 s[16:17], exec
	s_mov_b64 s[16:17], -1
	s_cbranch_scc0 .LBB0_267
; %bb.258:                              ;   in Loop: Header=BB0_253 Depth=2
	v_cmp_ne_u32_e64 s[16:17], 1, v1
	flat_store_byte v[32:33], v54
	s_and_saveexec_b64 s[44:45], s[16:17]
	s_cbranch_execnz .LBB0_269
; %bb.259:                              ;   in Loop: Header=BB0_253 Depth=2
	s_or_b64 exec, exec, s[44:45]
	v_cmp_lt_u32_e64 s[16:17], 2, v1
	s_and_saveexec_b64 s[44:45], s[16:17]
	s_cbranch_execnz .LBB0_270
.LBB0_260:                              ;   in Loop: Header=BB0_253 Depth=2
	s_or_b64 exec, exec, s[44:45]
	v_cmp_lt_u32_e64 s[16:17], 3, v1
	s_and_saveexec_b64 s[44:45], s[16:17]
	s_cbranch_execnz .LBB0_271
.LBB0_261:                              ;   in Loop: Header=BB0_253 Depth=2
	s_or_b64 exec, exec, s[44:45]
	v_cmp_lt_u32_e64 s[16:17], 4, v1
	s_and_saveexec_b64 s[44:45], s[16:17]
	s_cbranch_execnz .LBB0_272
.LBB0_262:                              ;   in Loop: Header=BB0_253 Depth=2
	s_or_b64 exec, exec, s[44:45]
	v_cmp_lt_u32_e64 s[16:17], 5, v1
	s_and_saveexec_b64 s[44:45], s[16:17]
	s_cbranch_execnz .LBB0_273
.LBB0_263:                              ;   in Loop: Header=BB0_253 Depth=2
	s_or_b64 exec, exec, s[44:45]
	v_cmp_lt_u32_e64 s[16:17], 6, v1
	s_and_saveexec_b64 s[44:45], s[16:17]
	s_cbranch_execnz .LBB0_274
.LBB0_264:                              ;   in Loop: Header=BB0_253 Depth=2
	s_or_b64 exec, exec, s[44:45]
	s_and_saveexec_b64 s[16:17], vcc
	s_cbranch_execz .LBB0_266
.LBB0_265:                              ;   in Loop: Header=BB0_253 Depth=2
	v_lshrrev_b32_e32 v22, 24, v55
	flat_store_byte v[32:33], v22 offset:7
.LBB0_266:                              ;   in Loop: Header=BB0_253 Depth=2
	s_or_b64 exec, exec, s[16:17]
	s_mov_b64 s[16:17], 0
.LBB0_267:                              ;   in Loop: Header=BB0_253 Depth=2
	s_and_b64 vcc, exec, s[16:17]
	s_cbranch_vccz .LBB0_252
; %bb.268:                              ;   in Loop: Header=BB0_253 Depth=2
	global_store_dwordx2 v[32:33], v[54:55], off
	s_branch .LBB0_252
.LBB0_269:                              ;   in Loop: Header=BB0_253 Depth=2
	v_lshrrev_b32_e32 v22, 8, v54
	flat_store_byte v[32:33], v22 offset:1
	s_or_b64 exec, exec, s[44:45]
	v_cmp_lt_u32_e64 s[16:17], 2, v1
	s_and_saveexec_b64 s[44:45], s[16:17]
	s_cbranch_execz .LBB0_260
.LBB0_270:                              ;   in Loop: Header=BB0_253 Depth=2
	flat_store_byte_d16_hi v[32:33], v54 offset:2
	s_or_b64 exec, exec, s[44:45]
	v_cmp_lt_u32_e64 s[16:17], 3, v1
	s_and_saveexec_b64 s[44:45], s[16:17]
	s_cbranch_execz .LBB0_261
.LBB0_271:                              ;   in Loop: Header=BB0_253 Depth=2
	v_lshrrev_b32_e32 v22, 24, v54
	flat_store_byte v[32:33], v22 offset:3
	s_or_b64 exec, exec, s[44:45]
	v_cmp_lt_u32_e64 s[16:17], 4, v1
	s_and_saveexec_b64 s[44:45], s[16:17]
	s_cbranch_execz .LBB0_262
.LBB0_272:                              ;   in Loop: Header=BB0_253 Depth=2
	flat_store_byte v[32:33], v55 offset:4
	s_or_b64 exec, exec, s[44:45]
	v_cmp_lt_u32_e64 s[16:17], 5, v1
	s_and_saveexec_b64 s[44:45], s[16:17]
	s_cbranch_execz .LBB0_263
.LBB0_273:                              ;   in Loop: Header=BB0_253 Depth=2
	v_lshrrev_b32_e32 v22, 8, v55
	flat_store_byte v[32:33], v22 offset:5
	s_or_b64 exec, exec, s[44:45]
	v_cmp_lt_u32_e64 s[16:17], 6, v1
	s_and_saveexec_b64 s[44:45], s[16:17]
	s_cbranch_execz .LBB0_264
.LBB0_274:                              ;   in Loop: Header=BB0_253 Depth=2
	flat_store_byte_d16_hi v[32:33], v55 offset:6
	s_or_b64 exec, exec, s[44:45]
	s_and_saveexec_b64 s[16:17], vcc
	s_cbranch_execnz .LBB0_265
	s_branch .LBB0_266
.LBB0_275:                              ;   in Loop: Header=BB0_59 Depth=1
	s_or_b64 exec, exec, s[42:43]
	v_accvgpr_read_b32 v45, a1
	v_accvgpr_read_b32 v23, a19
	;; [unrolled: 1-line block ×5, first 2 shown]
.LBB0_276:                              ;   in Loop: Header=BB0_59 Depth=1
	s_or_b64 exec, exec, s[40:41]
	v_and_b32_e32 v50, 0x7ffffff8, v26
	v_cmp_eq_u64_e32 vcc, s[34:35], v[50:51]
	v_cmp_gt_i32_e64 s[16:17], v62, v0
	s_and_b64 vcc, vcc, s[16:17]
	s_and_saveexec_b64 s[16:17], vcc
	s_cbranch_execz .LBB0_279
; %bb.277:                              ;   in Loop: Header=BB0_59 Depth=1
	v_and_b32_e32 v1, 7, v26
	v_mul_lo_u32 v12, v1, v62
	v_ashrrev_i32_e32 v13, 31, v12
	v_ashrrev_i32_e32 v1, 31, v0
	v_lshlrev_b64 v[12:13], 4, v[12:13]
	v_accvgpr_read_b32 v17, a13
	v_mov_b32_e32 v10, v51
	v_mov_b32_e32 v11, v26
	v_lshl_add_u64 v[12:13], v[0:1], 4, v[12:13]
	v_accvgpr_read_b32 v16, a12
	v_lshl_add_u64 v[10:11], v[10:11], 0, s[28:29]
	v_lshl_add_u64 v[16:17], v[16:17], 0, v[12:13]
	s_mov_b64 s[40:41], 0
.LBB0_278:                              ;   Parent Loop BB0_59 Depth=1
                                        ; =>  This Inner Loop Header: Depth=2
	v_add_u32_e32 v0, v0, v2
	v_mov_b32_e32 v12, v10
	v_mov_b32_e32 v13, v11
	v_cmp_ge_i32_e32 vcc, v0, v62
	global_store_dwordx4 v[16:17], v[10:13], off
	s_or_b64 s[40:41], vcc, s[40:41]
	v_lshl_add_u64 v[16:17], v[16:17], 0, v[46:47]
	s_andn2_b64 exec, exec, s[40:41]
	s_cbranch_execnz .LBB0_278
.LBB0_279:                              ;   in Loop: Header=BB0_59 Depth=1
	s_or_b64 exec, exec, s[16:17]
	v_lshl_add_u64 v[26:27], v[26:27], 0, 1
                                        ; implicit-def: $vgpr10
                                        ; implicit-def: $vgpr3
.LBB0_280:                              ;   in Loop: Header=BB0_59 Depth=1
	s_andn2_saveexec_b64 s[38:39], s[38:39]
	s_cbranch_execz .LBB0_57
; %bb.281:                              ;   in Loop: Header=BB0_59 Depth=1
	s_and_saveexec_b64 s[16:17], s[6:7]
	s_cbranch_execz .LBB0_297
; %bb.282:                              ;   in Loop: Header=BB0_59 Depth=1
	v_lshl_add_u64 v[0:1], v[8:9], 0, 1
	s_waitcnt vmcnt(0) lgkmcnt(0)
	v_lshl_add_u64 v[12:13], v[38:39], 0, 8
	v_cmp_lt_u64_e32 vcc, v[12:13], v[0:1]
	s_and_saveexec_b64 s[40:41], vcc
	s_cbranch_execz .LBB0_294
; %bb.283:                              ;   in Loop: Header=BB0_59 Depth=1
	s_sleep 1
	flat_load_dwordx2 v[38:39], v[28:29] sc1
	v_cmp_eq_u32_e32 vcc, 0, v31
	s_and_saveexec_b64 s[42:43], vcc
	s_cbranch_execz .LBB0_293
; %bb.284:                              ;   in Loop: Header=BB0_59 Depth=1
	v_cndmask_b32_e64 v9, 0, 1, vcc
	s_mov_b64 s[44:45], 0
                                        ; implicit-def: $sgpr46_sgpr47
	s_branch .LBB0_288
.LBB0_285:                              ;   in Loop: Header=BB0_288 Depth=2
	s_or_b64 exec, exec, s[54:55]
	s_orn2_b64 s[52:53], s[52:53], exec
.LBB0_286:                              ;   in Loop: Header=BB0_288 Depth=2
	s_or_b64 exec, exec, s[50:51]
	s_xor_b64 vcc, s[52:53], -1
	s_andn2_b64 s[46:47], s[46:47], exec
	s_and_b64 vcc, vcc, exec
	s_or_b64 s[46:47], s[46:47], vcc
.LBB0_287:                              ;   in Loop: Header=BB0_288 Depth=2
	s_or_b64 exec, exec, s[48:49]
	s_and_b64 vcc, exec, s[46:47]
	s_or_b64 s[44:45], vcc, s[44:45]
	s_andn2_b64 exec, exec, s[44:45]
	s_cbranch_execz .LBB0_292
.LBB0_288:                              ;   Parent Loop BB0_59 Depth=1
                                        ; =>  This Inner Loop Header: Depth=2
	s_waitcnt vmcnt(0) lgkmcnt(0)
	v_lshl_add_u64 v[12:13], v[38:39], 0, 8
	v_cmp_lt_u64_e32 vcc, v[12:13], v[0:1]
	v_mov_b32_e32 v31, 0
	s_or_b64 s[46:47], s[46:47], exec
	s_and_saveexec_b64 s[48:49], vcc
	s_cbranch_execz .LBB0_287
; %bb.289:                              ;   in Loop: Header=BB0_288 Depth=2
	s_sleep 1
	flat_load_dwordx2 v[38:39], v[28:29] sc1
	v_add_u32_e32 v9, 1, v9
	v_cmp_eq_u32_e32 vcc, s56, v9
	s_mov_b64 s[52:53], -1
	v_mov_b32_e32 v31, 0
	s_and_saveexec_b64 s[50:51], vcc
	s_cbranch_execz .LBB0_286
; %bb.290:                              ;   in Loop: Header=BB0_288 Depth=2
	s_trap 2
	ds_read_b64 v[12:13], v0
	v_mov_b32_e32 v9, 0
	v_mov_b32_e32 v31, 0
	s_waitcnt vmcnt(0) lgkmcnt(0)
	flat_load_dword v11, v[12:13] sc0 sc1
	s_waitcnt vmcnt(0) lgkmcnt(0)
	buffer_inv sc0 sc1
	v_cmp_ne_u32_e32 vcc, 0, v11
	s_and_saveexec_b64 s[54:55], vcc
	s_cbranch_execz .LBB0_285
; %bb.291:                              ;   in Loop: Header=BB0_288 Depth=2
	v_mov_b32_e32 v31, 1
	s_xor_b64 s[52:53], exec, -1
	ds_write_b32 v0, v11
	s_trap 2
	s_branch .LBB0_285
.LBB0_292:                              ;   in Loop: Header=BB0_59 Depth=1
	s_or_b64 exec, exec, s[44:45]
.LBB0_293:                              ;   in Loop: Header=BB0_59 Depth=1
	s_or_b64 exec, exec, s[42:43]
.LBB0_294:                              ;   in Loop: Header=BB0_59 Depth=1
	s_or_b64 exec, exec, s[40:41]
	s_and_saveexec_b64 s[40:41], s[8:9]
	s_cbranch_execz .LBB0_296
; %bb.295:                              ;   in Loop: Header=BB0_59 Depth=1
	v_and_b32_e32 v50, 0x7ffffff8, v8
	v_cmp_eq_u64_e32 vcc, s[34:35], v[50:51]
	v_and_b32_e32 v8, 7, v8
	s_nop 0
	v_cndmask_b32_e32 v9, v10, v62, vcc
	v_lshlrev_b32_e32 v10, 4, v9
	v_ashrrev_i32_e32 v11, 31, v10
	v_mad_u64_u32 v[8:9], vcc, v8, 24, v[6:7]
	flat_store_dwordx2 v[8:9], v[10:11] offset:8 sc0 sc1
	s_waitcnt vmcnt(0)
.LBB0_296:                              ;   in Loop: Header=BB0_59 Depth=1
	s_or_b64 exec, exec, s[40:41]
	v_mov_b64_e32 v[8:9], v[0:1]
.LBB0_297:                              ;   in Loop: Header=BB0_59 Depth=1
	s_or_b64 exec, exec, s[16:17]
	s_and_saveexec_b64 s[16:17], s[10:11]
	s_cbranch_execz .LBB0_316
; %bb.298:                              ;   in Loop: Header=BB0_59 Depth=1
	s_and_saveexec_b64 vcc, s[26:27]
	s_xor_b64 s[40:41], exec, vcc
	s_cbranch_execz .LBB0_313
; %bb.299:                              ;   in Loop: Header=BB0_59 Depth=1
	s_and_saveexec_b64 s[42:43], s[12:13]
	s_cbranch_execz .LBB0_312
; %bb.300:                              ;   in Loop: Header=BB0_59 Depth=1
	s_mov_b64 s[46:47], exec
	v_mbcnt_lo_u32_b32 v0, s46, 0
	v_mbcnt_hi_u32_b32 v0, s47, v0
	v_cmp_eq_u32_e32 vcc, 0, v0
	s_waitcnt lgkmcnt(0)
	s_and_saveexec_b64 s[44:45], vcc
	s_cbranch_execz .LBB0_302
; %bb.301:                              ;   in Loop: Header=BB0_59 Depth=1
	s_bcnt1_i32_b64 vcc_lo, s[46:47]
	v_mov_b32_e32 v50, vcc_lo
	ds_add_u64 v0, v[50:51]
	s_trap 2
.LBB0_302:                              ;   in Loop: Header=BB0_59 Depth=1
	s_or_b64 exec, exec, s[44:45]
	s_trap 2
	ds_read_b64 v[0:1], v0
	v_accvgpr_read_b32 v10, a20
	v_accvgpr_read_b32 v11, a21
	v_lshl_add_u64 v[18:19], v[18:19], 0, v[10:11]
	s_waitcnt lgkmcnt(0)
	v_cmp_lt_u64_e32 vcc, v[0:1], v[18:19]
	s_and_saveexec_b64 s[44:45], vcc
	s_cbranch_execz .LBB0_311
; %bb.303:                              ;   in Loop: Header=BB0_59 Depth=1
	s_mov_b32 s57, 0
	s_mov_b64 s[46:47], 0
                                        ; implicit-def: $sgpr48_sgpr49
                                        ; implicit-def: $sgpr50_sgpr51
	s_branch .LBB0_305
.LBB0_304:                              ;   in Loop: Header=BB0_305 Depth=2
	s_or_b64 exec, exec, s[54:55]
	s_and_b64 vcc, exec, vcc
	s_or_b64 s[46:47], vcc, s[46:47]
	s_andn2_b64 vcc, s[48:49], exec
	s_and_b64 s[48:49], s[50:51], exec
	s_or_b64 s[48:49], vcc, s[48:49]
	s_andn2_b64 exec, exec, s[46:47]
	s_cbranch_execz .LBB0_309
.LBB0_305:                              ;   Parent Loop BB0_59 Depth=1
                                        ; =>  This Inner Loop Header: Depth=2
	s_add_i32 s57, s57, 1
	s_cmpk_lg_i32 s57, 0x2710
	s_cselect_b64 s[52:53], -1, 0
	s_and_b64 vcc, exec, s[52:53]
                                        ; implicit-def: $sgpr54_sgpr55
	s_cbranch_vccnz .LBB0_307
; %bb.306:                              ;   in Loop: Header=BB0_305 Depth=2
	s_trap 2
	ds_read_b64 v[0:1], v0
	s_andn2_b64 s[52:53], s[52:53], exec
	s_mov_b32 s57, 0
	s_mov_b64 s[54:55], -1
	s_waitcnt vmcnt(0) lgkmcnt(0)
	flat_load_dword v0, v[0:1] sc0 sc1
	s_waitcnt vmcnt(0) lgkmcnt(0)
	buffer_inv sc0 sc1
	v_cmp_eq_u32_e32 vcc, 0, v0
	s_and_b64 vcc, vcc, exec
	s_or_b64 s[52:53], s[52:53], vcc
.LBB0_307:                              ;   in Loop: Header=BB0_305 Depth=2
	s_andn2_b64 s[50:51], s[50:51], exec
	s_and_b64 s[54:55], s[54:55], exec
	s_mov_b64 vcc, -1
	s_or_b64 s[50:51], s[50:51], s[54:55]
	s_and_saveexec_b64 s[54:55], s[52:53]
	s_cbranch_execz .LBB0_304
; %bb.308:                              ;   in Loop: Header=BB0_305 Depth=2
	s_sleep 1
	s_trap 2
	ds_read_b64 v[0:1], v0
	s_andn2_b64 s[50:51], s[50:51], exec
	s_waitcnt lgkmcnt(0)
	v_cmp_ge_u64_e32 vcc, v[0:1], v[18:19]
	s_orn2_b64 vcc, vcc, exec
	s_branch .LBB0_304
.LBB0_309:                              ;   in Loop: Header=BB0_59 Depth=1
	s_or_b64 exec, exec, s[46:47]
	s_and_saveexec_b64 vcc, s[48:49]
	s_xor_b64 vcc, exec, vcc
	s_cbranch_execz .LBB0_311
; %bb.310:                              ;   in Loop: Header=BB0_59 Depth=1
	v_mov_b32_e32 v0, 1
	ds_write_b32 v0, v0
	s_trap 2
.LBB0_311:                              ;   in Loop: Header=BB0_59 Depth=1
	s_or_b64 exec, exec, s[44:45]
	;;#ASMSTART
	s_wakeup
	;;#ASMEND
.LBB0_312:                              ;   in Loop: Header=BB0_59 Depth=1
	s_or_b64 exec, exec, s[42:43]
.LBB0_313:                              ;   in Loop: Header=BB0_59 Depth=1
	s_andn2_saveexec_b64 vcc, s[40:41]
	s_cbranch_execz .LBB0_315
; %bb.314:                              ;   in Loop: Header=BB0_59 Depth=1
	s_waitcnt lgkmcnt(0)
	s_barrier
.LBB0_315:                              ;   in Loop: Header=BB0_59 Depth=1
	s_or_b64 exec, exec, vcc
.LBB0_316:                              ;   in Loop: Header=BB0_59 Depth=1
	s_or_b64 exec, exec, s[16:17]
	v_sub_u32_e32 v3, v3, v40
	v_cmp_lt_i32_e32 vcc, 0, v3
	v_and_b32_e32 v1, 7, v26
	v_accvgpr_read_b32 v0, a2
	s_and_saveexec_b64 s[16:17], vcc
	s_cbranch_execz .LBB0_324
; %bb.317:                              ;   in Loop: Header=BB0_59 Depth=1
	v_mul_lo_u32 v12, v1, v62
	v_accvgpr_read_b32 v16, a24
	v_ashrrev_i32_e32 v13, 31, v12
	v_mov_b32_e32 v10, v51
	v_mov_b32_e32 v11, v26
	v_accvgpr_read_b32 v17, a25
	v_lshl_add_u64 v[10:11], v[10:11], 0, s[28:29]
	v_lshl_add_u64 v[12:13], v[12:13], 4, v[16:17]
	s_mov_b64 s[40:41], 0
	v_mov_b32_e32 v24, v52
	v_mov_b64_e32 v[16:17], v[58:59]
	v_accvgpr_read_b32 v0, a2
	s_branch .LBB0_319
.LBB0_318:                              ;   in Loop: Header=BB0_319 Depth=2
	s_or_b64 exec, exec, s[42:43]
	s_waitcnt vmcnt(0)
	v_alignbit_b32 v20, v32, v25, v24
	v_alignbit_b32 v21, v33, v32, v24
	v_sub_u32_e32 v3, v3, v42
	v_or_b32_e32 v20, v10, v20
	v_or_b32_e32 v22, v10, v21
	v_mov_b32_e32 v21, v11
	v_mov_b32_e32 v23, v11
	v_cmp_gt_i32_e32 vcc, 1, v3
	global_store_dwordx4 v[12:13], v[20:23], off
	v_add_u32_e32 v0, v0, v2
	v_lshl_add_u64 v[16:17], v[16:17], 0, v[42:43]
	v_add_u32_e32 v24, v24, v53
	s_or_b64 s[40:41], vcc, s[40:41]
	v_lshl_add_u64 v[12:13], v[12:13], 0, v[46:47]
	s_andn2_b64 exec, exec, s[40:41]
	s_cbranch_execz .LBB0_323
.LBB0_319:                              ;   Parent Loop BB0_59 Depth=1
                                        ; =>  This Inner Loop Header: Depth=2
	v_and_b32_e32 v20, -4, v16
	v_mov_b32_e32 v21, v17
	global_load_dword v25, v[20:21], off nt
	v_min_u32_e32 v50, 8, v3
	v_and_b32_e32 v32, 3, v16
	v_mov_b32_e32 v33, 0
	v_lshl_add_u64 v[54:55], v[32:33], 0, v[50:51]
	v_cmp_lt_u64_e32 vcc, 4, v[54:55]
	v_mov_b32_e32 v32, 0
	s_and_saveexec_b64 s[42:43], vcc
	s_cbranch_execz .LBB0_321
; %bb.320:                              ;   in Loop: Header=BB0_319 Depth=2
	global_load_dword v32, v[20:21], off offset:4 nt
.LBB0_321:                              ;   in Loop: Header=BB0_319 Depth=2
	s_or_b64 exec, exec, s[42:43]
	v_cmp_lt_u64_e32 vcc, 8, v[54:55]
	s_and_saveexec_b64 s[42:43], vcc
	s_cbranch_execz .LBB0_318
; %bb.322:                              ;   in Loop: Header=BB0_319 Depth=2
	global_load_dword v33, v[20:21], off offset:8 nt
	s_branch .LBB0_318
.LBB0_323:                              ;   in Loop: Header=BB0_59 Depth=1
	s_or_b64 exec, exec, s[40:41]
	v_accvgpr_read_b32 v23, a19
	v_accvgpr_read_b32 v22, a18
	;; [unrolled: 1-line block ×3, first 2 shown]
.LBB0_324:                              ;   in Loop: Header=BB0_59 Depth=1
	s_or_b64 exec, exec, s[16:17]
	v_and_b32_e32 v50, 0x7ffffff8, v26
	v_cmp_eq_u64_e32 vcc, s[34:35], v[50:51]
	v_cmp_gt_i32_e64 s[16:17], v62, v0
	s_and_b64 vcc, vcc, s[16:17]
	s_and_saveexec_b64 s[16:17], vcc
	s_cbranch_execz .LBB0_56
; %bb.325:                              ;   in Loop: Header=BB0_59 Depth=1
	v_mul_lo_u32 v12, v1, v62
	v_ashrrev_i32_e32 v13, 31, v12
	v_ashrrev_i32_e32 v1, 31, v0
	v_lshlrev_b64 v[12:13], 4, v[12:13]
	v_accvgpr_read_b32 v17, a13
	v_mov_b32_e32 v10, v51
	v_mov_b32_e32 v11, v26
	v_lshl_add_u64 v[12:13], v[0:1], 4, v[12:13]
	v_accvgpr_read_b32 v16, a12
	v_lshl_add_u64 v[10:11], v[10:11], 0, s[28:29]
	v_lshl_add_u64 v[16:17], v[16:17], 0, v[12:13]
	s_mov_b64 s[40:41], 0
.LBB0_326:                              ;   Parent Loop BB0_59 Depth=1
                                        ; =>  This Inner Loop Header: Depth=2
	v_add_u32_e32 v0, v0, v2
	v_mov_b32_e32 v12, v10
	v_mov_b32_e32 v13, v11
	v_cmp_ge_i32_e32 vcc, v0, v62
	global_store_dwordx4 v[16:17], v[10:13], off
	s_or_b64 s[40:41], vcc, s[40:41]
	v_lshl_add_u64 v[16:17], v[16:17], 0, v[46:47]
	s_andn2_b64 exec, exec, s[40:41]
	s_cbranch_execnz .LBB0_326
	s_branch .LBB0_56
.LBB0_327:
	s_or_b64 exec, exec, s[24:25]
	v_accvgpr_read_b32 v17, a7
	v_accvgpr_read_b32 v23, a9
	v_mov_b32_e32 v31, v30
	v_accvgpr_read_b32 v20, a4
	v_accvgpr_read_b32 v16, a6
	;; [unrolled: 1-line block ×3, first 2 shown]
	s_or_b64 exec, exec, s[22:23]
	s_and_saveexec_b64 s[2:3], s[20:21]
	s_cbranch_execz .LBB0_53
.LBB0_328:
	s_waitcnt lgkmcnt(0)
	flat_store_dwordx2 v[22:23], a[14:15] offset:104
	s_or_b64 exec, exec, s[2:3]
	s_and_saveexec_b64 s[2:3], s[0:1]
	s_cbranch_execz .LBB0_54
.LBB0_329:
	s_waitcnt lgkmcnt(0)
	flat_store_dwordx2 v[16:17], v[8:9] offset:104
	s_or_b64 exec, exec, s[2:3]
	v_cmp_ne_u32_e32 vcc, 64, v2
	s_and_saveexec_b64 s[0:1], vcc
	s_cbranch_execz .LBB0_347
.LBB0_330:
	v_cmp_ne_u32_sdwa s[2:3], v2, v20 src0_sel:DWORD src1_sel:WORD_0
	s_and_saveexec_b64 s[4:5], s[2:3]
	s_xor_b64 s[2:3], exec, s[4:5]
	s_cbranch_execz .LBB0_345
; %bb.331:
	v_and_b32_e32 v0, 63, v31
	v_cmp_eq_u32_e32 vcc, 0, v0
	s_and_saveexec_b64 s[4:5], vcc
	s_cbranch_execz .LBB0_344
; %bb.332:
	s_mov_b64 s[8:9], exec
	v_mbcnt_lo_u32_b32 v0, s8, 0
	v_mbcnt_hi_u32_b32 v0, s9, v0
	v_cmp_eq_u32_e32 vcc, 0, v0
	s_waitcnt lgkmcnt(0)
	s_and_saveexec_b64 s[6:7], vcc
	s_cbranch_execz .LBB0_334
; %bb.333:
	s_bcnt1_i32_b64 s8, s[8:9]
	v_mov_b32_e32 v0, s8
	v_mov_b32_e32 v1, 0
	ds_add_u64 v0, v[0:1]
	s_trap 2
.LBB0_334:
	s_or_b64 exec, exec, s[6:7]
	v_ashrrev_i32_e32 v0, 31, v2
	v_lshrrev_b32_e32 v0, 26, v0
	s_trap 2
	ds_read_b64 v[4:5], v0
	v_add_u32_e32 v0, v2, v0
	v_ashrrev_i32_e32 v0, 6, v0
	v_ashrrev_i32_e32 v1, 31, v0
	v_lshl_add_u64 v[0:1], v[18:19], 0, v[0:1]
	s_waitcnt lgkmcnt(0)
	v_cmp_lt_u64_e32 vcc, v[4:5], v[0:1]
	s_and_saveexec_b64 s[6:7], vcc
	s_cbranch_execz .LBB0_343
; %bb.335:
	s_mov_b32 s22, 0
	s_mov_b64 s[8:9], 0
                                        ; implicit-def: $sgpr10_sgpr11
                                        ; implicit-def: $sgpr12_sgpr13
	s_branch .LBB0_337
.LBB0_336:                              ;   in Loop: Header=BB0_337 Depth=1
	s_or_b64 exec, exec, s[20:21]
	s_and_b64 s[14:15], exec, s[16:17]
	s_or_b64 s[8:9], s[14:15], s[8:9]
	s_andn2_b64 s[10:11], s[10:11], exec
	s_and_b64 s[14:15], s[12:13], exec
	s_or_b64 s[10:11], s[10:11], s[14:15]
	s_andn2_b64 exec, exec, s[8:9]
	s_cbranch_execz .LBB0_341
.LBB0_337:                              ; =>This Inner Loop Header: Depth=1
	s_add_i32 s22, s22, 1
	s_cmpk_lg_i32 s22, 0x2710
	s_cselect_b64 s[14:15], -1, 0
	s_and_b64 vcc, exec, s[14:15]
                                        ; implicit-def: $sgpr20_sgpr21
	s_cbranch_vccnz .LBB0_339
; %bb.338:                              ;   in Loop: Header=BB0_337 Depth=1
	s_trap 2
	ds_read_b64 v[2:3], v0
	s_andn2_b64 s[14:15], s[14:15], exec
	s_mov_b32 s22, 0
	s_mov_b64 s[20:21], -1
	s_waitcnt vmcnt(0) lgkmcnt(0)
	flat_load_dword v2, v[2:3] sc0 sc1
	s_waitcnt vmcnt(0) lgkmcnt(0)
	buffer_inv sc0 sc1
	v_cmp_eq_u32_e32 vcc, 0, v2
	s_and_b64 s[16:17], vcc, exec
	s_or_b64 s[14:15], s[14:15], s[16:17]
.LBB0_339:                              ;   in Loop: Header=BB0_337 Depth=1
	s_andn2_b64 s[12:13], s[12:13], exec
	s_and_b64 s[20:21], s[20:21], exec
	s_mov_b64 s[16:17], -1
	s_or_b64 s[12:13], s[12:13], s[20:21]
	s_and_saveexec_b64 s[20:21], s[14:15]
	s_cbranch_execz .LBB0_336
; %bb.340:                              ;   in Loop: Header=BB0_337 Depth=1
	s_sleep 1
	s_trap 2
	ds_read_b64 v[2:3], v0
	s_andn2_b64 s[12:13], s[12:13], exec
	s_waitcnt lgkmcnt(0)
	v_cmp_ge_u64_e32 vcc, v[2:3], v[0:1]
	s_orn2_b64 s[16:17], vcc, exec
	s_branch .LBB0_336
.LBB0_341:
	s_or_b64 exec, exec, s[8:9]
	s_and_saveexec_b64 s[8:9], s[10:11]
	s_xor_b64 s[8:9], exec, s[8:9]
	s_cbranch_execz .LBB0_343
; %bb.342:
	v_mov_b32_e32 v0, 1
	ds_write_b32 v0, v0
	s_trap 2
.LBB0_343:
	s_or_b64 exec, exec, s[6:7]
	;;#ASMSTART
	s_wakeup
	;;#ASMEND
.LBB0_344:
	s_or_b64 exec, exec, s[4:5]
.LBB0_345:
	s_andn2_saveexec_b64 s[2:3], s[2:3]
	s_cbranch_execz .LBB0_347
; %bb.346:
	s_waitcnt lgkmcnt(0)
	s_barrier
.LBB0_347:
	s_or_b64 exec, exec, s[0:1]
.LBB0_348:
	s_or_b64 exec, exec, s[18:19]
	scratch_load_dword v62, off, s32        ; 4-byte Folded Reload
	scratch_load_dword v61, off, s32 offset:4 ; 4-byte Folded Reload
	scratch_load_dword v60, off, s32 offset:8 ; 4-byte Folded Reload
	;; [unrolled: 1-line block ×7, first 2 shown]
	v_readlane_b32 s30, v63, 24
	v_readlane_b32 s31, v63, 25
	;; [unrolled: 1-line block ×26, first 2 shown]
	v_accvgpr_read_b32 v46, a31             ;  Reload Reuse
	v_accvgpr_read_b32 v45, a30             ;  Reload Reuse
	;; [unrolled: 1-line block ×6, first 2 shown]
	v_accvgpr_read_b32 v40, a5              ;  Reload Reuse
	s_or_saveexec_b64 s[0:1], -1
	scratch_load_dword v63, off, s32 offset:32 ; 4-byte Folded Reload
	s_mov_b64 exec, s[0:1]
	s_waitcnt vmcnt(0) lgkmcnt(0)
	s_setpc_b64 s[30:31]
.Lfunc_end0:
	.size	_ZN12_GLOBAL__N_17runRingIa7FuncSumIaE7ProtoLLLi0ELi1ELi0EEEviiP15ncclDevWorkColl, .Lfunc_end0-_ZN12_GLOBAL__N_17runRingIa7FuncSumIaE7ProtoLLLi0ELi1ELi0EEEviiP15ncclDevWorkColl
                                        ; -- End function
	.section	.AMDGPU.csdata,"",@progbits
; Function info:
; codeLenInByte = 11028
; NumSgprs: 64
; NumVgprs: 64
; NumAgprs: 32
; TotalNumVgprs: 96
; ScratchSize: 40
; MemoryBound: 1
	.text
	.p2align	2                               ; -- Begin function _Z42ncclDevFunc_Broadcast_RING_LL_Sum_i8_0_0_1v
	.type	_Z42ncclDevFunc_Broadcast_RING_LL_Sum_i8_0_0_1v,@function
_Z42ncclDevFunc_Broadcast_RING_LL_Sum_i8_0_0_1v: ; @_Z42ncclDevFunc_Broadcast_RING_LL_Sum_i8_0_0_1v
; %bb.0:
	s_waitcnt vmcnt(0) expcnt(0) lgkmcnt(0)
	s_mov_b32 s0, s33
	s_mov_b32 s33, s32
	s_or_saveexec_b64 s[2:3], -1
	scratch_store_dword off, v43, s33 offset:16 ; 4-byte Folded Spill
	s_mov_b64 exec, s[2:3]
	v_writelane_b32 v43, s0, 34
	s_add_i32 s32, s32, 32
	scratch_store_dword off, v40, s33 offset:12 ; 4-byte Folded Spill
	scratch_store_dword off, v41, s33 offset:8 ; 4-byte Folded Spill
	;; [unrolled: 1-line block ×3, first 2 shown]
	scratch_store_dword off, v63, s33       ; 4-byte Folded Spill
	v_writelane_b32 v43, s34, 0
	v_writelane_b32 v43, s35, 1
	;; [unrolled: 1-line block ×33, first 2 shown]
	s_nop 1
	v_writelane_b32 v43, s31, 33
	s_trap 2
	ds_read_b32 v0, v0
	v_mov_b32_e32 v40, v31
	s_mov_b32 s60, s12
	s_mov_b64 s[58:59], s[8:9]
	s_waitcnt lgkmcnt(0)
	v_cmp_gt_i32_e32 vcc, 1, v0
	s_cbranch_vccnz .LBB1_8
; %bb.1:
	s_mov_b32 s61, 0
	v_and_b32_e32 v41, 0x3ff, v40
	s_mov_b64 s[62:63], src_shared_base
	v_mov_b32_e32 v42, 6
	s_branch .LBB1_3
.LBB1_2:                                ;   in Loop: Header=BB1_3 Depth=1
	s_or_b64 exec, exec, s[64:65]
	s_trap 2
	ds_read_b32 v0, v0
	s_add_i32 s61, s61, 1
	s_waitcnt lgkmcnt(0)
	v_cmp_lt_i32_e32 vcc, s61, v0
	s_cbranch_vccz .LBB1_8
.LBB1_3:                                ; =>This Inner Loop Header: Depth=1
	s_trap 2
	ds_read_b32 v0, v0
	s_cmp_eq_u32 s61, 0
	s_cbranch_scc1 .LBB1_6
; %bb.4:                                ;   in Loop: Header=BB1_3 Depth=1
	s_trap 2
	s_waitcnt lgkmcnt(0)
	ds_read_b32 v1, v0
	s_waitcnt lgkmcnt(0)
	v_xor_b32_e32 v1, v1, v0
	v_and_b32_e32 v1, 0xff0000, v1
	v_cmp_eq_u32_e32 vcc, 0, v1
	s_cbranch_vccnz .LBB1_6
; %bb.5:                                ;   in Loop: Header=BB1_3 Depth=1
	s_barrier
	ds_read_b32 v0, v0
.LBB1_6:                                ;   in Loop: Header=BB1_3 Depth=1
	s_waitcnt lgkmcnt(0)
	v_lshlrev_b32_sdwa v1, v42, v0 dst_sel:DWORD dst_unused:UNUSED_PAD src0_sel:DWORD src1_sel:BYTE_2
	v_cmp_lt_u32_e32 vcc, v41, v1
	s_and_saveexec_b64 s[64:65], vcc
	s_cbranch_execz .LBB1_2
; %bb.7:                                ;   in Loop: Header=BB1_3 Depth=1
	s_mov_b64 s[8:9], s[58:59]
	s_mov_b32 s12, s60
	v_mov_b32_e32 v31, v40
	v_mov_b32_e32 v0, v41
	;; [unrolled: 1-line block ×3, first 2 shown]
	s_getpc_b64 s[0:1]
	s_add_u32 s0, s0, _ZN12_GLOBAL__N_17runRingIa7FuncSumIaE7ProtoLLLi0ELi1ELi0EEEviiP15ncclDevWorkColl@rel32@lo+4
	s_addc_u32 s1, s1, _ZN12_GLOBAL__N_17runRingIa7FuncSumIaE7ProtoLLLi0ELi1ELi0EEEviiP15ncclDevWorkColl@rel32@hi+12
	s_swappc_b64 s[30:31], s[0:1]
	s_branch .LBB1_2
.LBB1_8:
	scratch_load_dword v63, off, s33        ; 4-byte Folded Reload
	scratch_load_dword v42, off, s33 offset:4 ; 4-byte Folded Reload
	scratch_load_dword v41, off, s33 offset:8 ; 4-byte Folded Reload
	;; [unrolled: 1-line block ×3, first 2 shown]
	v_readlane_b32 s30, v43, 32
	v_readlane_b32 s31, v43, 33
	;; [unrolled: 1-line block ×35, first 2 shown]
	s_or_saveexec_b64 s[2:3], -1
	scratch_load_dword v43, off, s33 offset:16 ; 4-byte Folded Reload
	s_mov_b64 exec, s[2:3]
	s_addk_i32 s32, 0xffe0
	s_mov_b32 s33, s0
	s_waitcnt vmcnt(0)
	s_setpc_b64 s[30:31]
.Lfunc_end1:
	.size	_Z42ncclDevFunc_Broadcast_RING_LL_Sum_i8_0_0_1v, .Lfunc_end1-_Z42ncclDevFunc_Broadcast_RING_LL_Sum_i8_0_0_1v
                                        ; -- End function
	.section	.AMDGPU.csdata,"",@progbits
; Function info:
; codeLenInByte = 928
; NumSgprs: 72
; NumVgprs: 64
; NumAgprs: 32
; TotalNumVgprs: 96
; ScratchSize: 72
; MemoryBound: 0
	.text
	.p2align	2                               ; -- Begin function __ockl_fprintf_append_string_n
	.type	__ockl_fprintf_append_string_n,@function
__ockl_fprintf_append_string_n:         ; @__ockl_fprintf_append_string_n
; %bb.0:
	s_waitcnt vmcnt(0) expcnt(0) lgkmcnt(0)
	v_mov_b32_e32 v9, v3
	v_mov_b32_e32 v8, v2
	v_or_b32_e32 v2, 2, v0
	v_cmp_eq_u32_e32 vcc, 0, v6
	s_mov_b32 s18, 0
	s_mov_b64 s[2:3], 0
	v_cndmask_b32_e32 v0, v2, v0, vcc
	v_cmp_ne_u64_e32 vcc, 0, v[8:9]
	v_mbcnt_lo_u32_b32 v2, -1, 0
	s_and_saveexec_b64 s[0:1], vcc
	s_xor_b64 s[4:5], exec, s[0:1]
	s_cbranch_execz .LBB2_86
; %bb.1:
	s_load_dwordx2 s[6:7], s[8:9], 0x50
	v_and_b32_e32 v6, 2, v0
	v_mov_b32_e32 v31, 0
	v_and_b32_e32 v0, -3, v0
	v_mbcnt_hi_u32_b32 v32, -1, v2
	s_movk_i32 s19, 0xff1f
	v_mov_b32_e32 v12, 2
	v_mov_b32_e32 v13, 1
	s_branch .LBB2_3
.LBB2_2:                                ;   in Loop: Header=BB2_3 Depth=1
	s_or_b64 exec, exec, s[12:13]
	v_sub_co_u32_e32 v4, vcc, v4, v34
	v_lshl_add_u64 v[8:9], v[8:9], 0, v[34:35]
	s_nop 0
	v_subb_co_u32_e32 v5, vcc, v5, v35, vcc
	v_cmp_eq_u64_e32 vcc, 0, v[4:5]
	s_or_b64 s[2:3], vcc, s[2:3]
	s_andn2_b64 exec, exec, s[2:3]
	s_cbranch_execz .LBB2_85
.LBB2_3:                                ; =>This Loop Header: Depth=1
                                        ;     Child Loop BB2_6 Depth 2
                                        ;     Child Loop BB2_14 Depth 2
	;; [unrolled: 1-line block ×11, first 2 shown]
	v_cmp_gt_u64_e32 vcc, 56, v[4:5]
                                        ; implicit-def: $vgpr2_vgpr3
                                        ; implicit-def: $sgpr10
	s_nop 1
	v_cndmask_b32_e32 v35, 0, v5, vcc
	v_cndmask_b32_e32 v34, 56, v4, vcc
	v_cmp_gt_u64_e32 vcc, 8, v[4:5]
	s_and_saveexec_b64 s[0:1], vcc
	s_xor_b64 s[0:1], exec, s[0:1]
	s_cbranch_execz .LBB2_9
; %bb.4:                                ;   in Loop: Header=BB2_3 Depth=1
	s_mov_b64 s[12:13], 0
	v_cmp_ne_u64_e32 vcc, 0, v[4:5]
	s_waitcnt vmcnt(0)
	v_mov_b64_e32 v[2:3], 0
	s_and_saveexec_b64 s[10:11], vcc
	s_cbranch_execz .LBB2_8
; %bb.5:                                ;   in Loop: Header=BB2_3 Depth=1
	v_lshlrev_b64 v[10:11], 3, v[34:35]
	v_mov_b64_e32 v[2:3], 0
	v_mov_b64_e32 v[14:15], v[8:9]
	s_mov_b64 s[14:15], 0
.LBB2_6:                                ;   Parent Loop BB2_3 Depth=1
                                        ; =>  This Inner Loop Header: Depth=2
	flat_load_ubyte v7, v[14:15]
	v_mov_b32_e32 v17, s18
	v_lshl_add_u64 v[14:15], v[14:15], 0, 1
	s_waitcnt vmcnt(0) lgkmcnt(0)
	v_and_b32_e32 v16, 0xffff, v7
	v_lshlrev_b64 v[16:17], s14, v[16:17]
	s_add_u32 s14, s14, 8
	s_addc_u32 s15, s15, 0
	v_cmp_eq_u32_e32 vcc, s14, v10
	v_or_b32_e32 v3, v17, v3
	s_or_b64 s[12:13], vcc, s[12:13]
	v_or_b32_e32 v2, v16, v2
	s_andn2_b64 exec, exec, s[12:13]
	s_cbranch_execnz .LBB2_6
; %bb.7:                                ;   in Loop: Header=BB2_3 Depth=1
	s_or_b64 exec, exec, s[12:13]
.LBB2_8:                                ;   in Loop: Header=BB2_3 Depth=1
	s_or_b64 exec, exec, s[10:11]
	s_mov_b32 s10, 0
.LBB2_9:                                ;   in Loop: Header=BB2_3 Depth=1
	s_or_saveexec_b64 s[0:1], s[0:1]
	v_mov_b32_e32 v7, s10
	v_mov_b64_e32 v[10:11], v[8:9]
	s_xor_b64 exec, exec, s[0:1]
	s_cbranch_execz .LBB2_11
; %bb.10:                               ;   in Loop: Header=BB2_3 Depth=1
	s_waitcnt vmcnt(0)
	flat_load_dwordx2 v[2:3], v[8:9]
	v_add_u32_e32 v7, -8, v34
	s_waitcnt vmcnt(0) lgkmcnt(0)
	v_and_b32_e32 v10, 0xff, v3
	v_and_b32_e32 v11, 0xff00, v3
	;; [unrolled: 1-line block ×4, first 2 shown]
	v_or_b32_e32 v10, v10, v11
	v_or3_b32 v2, v2, 0, 0
	v_or3_b32 v3, v10, v14, v3
	v_lshl_add_u64 v[10:11], v[8:9], 0, 8
.LBB2_11:                               ;   in Loop: Header=BB2_3 Depth=1
	s_or_b64 exec, exec, s[0:1]
	v_cmp_gt_u32_e32 vcc, 8, v7
                                        ; implicit-def: $vgpr14_vgpr15
                                        ; implicit-def: $sgpr10
	s_and_saveexec_b64 s[0:1], vcc
	s_xor_b64 s[0:1], exec, s[0:1]
	s_cbranch_execz .LBB2_17
; %bb.12:                               ;   in Loop: Header=BB2_3 Depth=1
	v_cmp_ne_u32_e32 vcc, 0, v7
	v_mov_b64_e32 v[14:15], 0
	s_and_saveexec_b64 s[10:11], vcc
	s_cbranch_execz .LBB2_16
; %bb.13:                               ;   in Loop: Header=BB2_3 Depth=1
	s_mov_b64 s[12:13], 0
	v_mov_b64_e32 v[14:15], 0
	s_mov_b64 s[14:15], 0
	s_mov_b64 s[16:17], 0
.LBB2_14:                               ;   Parent Loop BB2_3 Depth=1
                                        ; =>  This Inner Loop Header: Depth=2
	v_lshl_add_u64 v[16:17], v[10:11], 0, s[16:17]
	flat_load_ubyte v16, v[16:17]
	s_add_u32 s16, s16, 1
	v_mov_b32_e32 v17, s18
	s_addc_u32 s17, s17, 0
	v_cmp_eq_u32_e32 vcc, s16, v7
	s_waitcnt vmcnt(0) lgkmcnt(0)
	v_and_b32_e32 v16, 0xffff, v16
	v_lshlrev_b64 v[16:17], s14, v[16:17]
	s_add_u32 s14, s14, 8
	s_addc_u32 s15, s15, 0
	v_or_b32_e32 v15, v17, v15
	s_or_b64 s[12:13], vcc, s[12:13]
	v_or_b32_e32 v14, v16, v14
	s_andn2_b64 exec, exec, s[12:13]
	s_cbranch_execnz .LBB2_14
; %bb.15:                               ;   in Loop: Header=BB2_3 Depth=1
	s_or_b64 exec, exec, s[12:13]
.LBB2_16:                               ;   in Loop: Header=BB2_3 Depth=1
	s_or_b64 exec, exec, s[10:11]
	s_mov_b32 s10, 0
                                        ; implicit-def: $vgpr7
.LBB2_17:                               ;   in Loop: Header=BB2_3 Depth=1
	s_or_saveexec_b64 s[0:1], s[0:1]
	v_mov_b32_e32 v18, s10
	s_xor_b64 exec, exec, s[0:1]
	s_cbranch_execz .LBB2_19
; %bb.18:                               ;   in Loop: Header=BB2_3 Depth=1
	flat_load_dwordx2 v[14:15], v[10:11]
	v_add_u32_e32 v18, -8, v7
	v_lshl_add_u64 v[10:11], v[10:11], 0, 8
	s_waitcnt vmcnt(0) lgkmcnt(0)
	v_and_b32_e32 v7, 0xff, v15
	v_and_b32_e32 v16, 0xff00, v15
	;; [unrolled: 1-line block ×4, first 2 shown]
	v_or_b32_e32 v7, v7, v16
	v_or3_b32 v14, v14, 0, 0
	v_or3_b32 v15, v7, v17, v15
.LBB2_19:                               ;   in Loop: Header=BB2_3 Depth=1
	s_or_b64 exec, exec, s[0:1]
	v_cmp_gt_u32_e32 vcc, 8, v18
                                        ; implicit-def: $sgpr10
	s_and_saveexec_b64 s[0:1], vcc
	s_xor_b64 s[0:1], exec, s[0:1]
	s_cbranch_execz .LBB2_25
; %bb.20:                               ;   in Loop: Header=BB2_3 Depth=1
	v_cmp_ne_u32_e32 vcc, 0, v18
	v_mov_b64_e32 v[16:17], 0
	s_and_saveexec_b64 s[10:11], vcc
	s_cbranch_execz .LBB2_24
; %bb.21:                               ;   in Loop: Header=BB2_3 Depth=1
	s_mov_b64 s[12:13], 0
	v_mov_b64_e32 v[16:17], 0
	s_mov_b64 s[14:15], 0
	s_mov_b64 s[16:17], 0
.LBB2_22:                               ;   Parent Loop BB2_3 Depth=1
                                        ; =>  This Inner Loop Header: Depth=2
	v_lshl_add_u64 v[20:21], v[10:11], 0, s[16:17]
	flat_load_ubyte v7, v[20:21]
	s_add_u32 s16, s16, 1
	v_mov_b32_e32 v21, s18
	s_addc_u32 s17, s17, 0
	v_cmp_eq_u32_e32 vcc, s16, v18
	s_waitcnt vmcnt(0) lgkmcnt(0)
	v_and_b32_e32 v20, 0xffff, v7
	v_lshlrev_b64 v[20:21], s14, v[20:21]
	s_add_u32 s14, s14, 8
	s_addc_u32 s15, s15, 0
	v_or_b32_e32 v17, v21, v17
	s_or_b64 s[12:13], vcc, s[12:13]
	v_or_b32_e32 v16, v20, v16
	s_andn2_b64 exec, exec, s[12:13]
	s_cbranch_execnz .LBB2_22
; %bb.23:                               ;   in Loop: Header=BB2_3 Depth=1
	s_or_b64 exec, exec, s[12:13]
.LBB2_24:                               ;   in Loop: Header=BB2_3 Depth=1
	s_or_b64 exec, exec, s[10:11]
	s_mov_b32 s10, 0
                                        ; implicit-def: $vgpr18
.LBB2_25:                               ;   in Loop: Header=BB2_3 Depth=1
	s_or_saveexec_b64 s[0:1], s[0:1]
	v_mov_b32_e32 v7, s10
	s_xor_b64 exec, exec, s[0:1]
	s_cbranch_execz .LBB2_27
; %bb.26:                               ;   in Loop: Header=BB2_3 Depth=1
	flat_load_dwordx2 v[16:17], v[10:11]
	v_add_u32_e32 v7, -8, v18
	v_lshl_add_u64 v[10:11], v[10:11], 0, 8
	s_waitcnt vmcnt(0) lgkmcnt(0)
	v_and_b32_e32 v18, 0xff, v17
	v_and_b32_e32 v19, 0xff00, v17
	;; [unrolled: 1-line block ×4, first 2 shown]
	v_or_b32_e32 v18, v18, v19
	v_or3_b32 v16, v16, 0, 0
	v_or3_b32 v17, v18, v20, v17
.LBB2_27:                               ;   in Loop: Header=BB2_3 Depth=1
	s_or_b64 exec, exec, s[0:1]
	v_cmp_gt_u32_e32 vcc, 8, v7
                                        ; implicit-def: $vgpr18_vgpr19
                                        ; implicit-def: $sgpr10
	s_and_saveexec_b64 s[0:1], vcc
	s_xor_b64 s[0:1], exec, s[0:1]
	s_cbranch_execz .LBB2_33
; %bb.28:                               ;   in Loop: Header=BB2_3 Depth=1
	v_cmp_ne_u32_e32 vcc, 0, v7
	v_mov_b64_e32 v[18:19], 0
	s_and_saveexec_b64 s[10:11], vcc
	s_cbranch_execz .LBB2_32
; %bb.29:                               ;   in Loop: Header=BB2_3 Depth=1
	s_mov_b64 s[12:13], 0
	v_mov_b64_e32 v[18:19], 0
	s_mov_b64 s[14:15], 0
	s_mov_b64 s[16:17], 0
.LBB2_30:                               ;   Parent Loop BB2_3 Depth=1
                                        ; =>  This Inner Loop Header: Depth=2
	v_lshl_add_u64 v[20:21], v[10:11], 0, s[16:17]
	flat_load_ubyte v20, v[20:21]
	s_add_u32 s16, s16, 1
	v_mov_b32_e32 v21, s18
	s_addc_u32 s17, s17, 0
	v_cmp_eq_u32_e32 vcc, s16, v7
	s_waitcnt vmcnt(0) lgkmcnt(0)
	v_and_b32_e32 v20, 0xffff, v20
	v_lshlrev_b64 v[20:21], s14, v[20:21]
	s_add_u32 s14, s14, 8
	s_addc_u32 s15, s15, 0
	v_or_b32_e32 v19, v21, v19
	s_or_b64 s[12:13], vcc, s[12:13]
	v_or_b32_e32 v18, v20, v18
	s_andn2_b64 exec, exec, s[12:13]
	s_cbranch_execnz .LBB2_30
; %bb.31:                               ;   in Loop: Header=BB2_3 Depth=1
	s_or_b64 exec, exec, s[12:13]
.LBB2_32:                               ;   in Loop: Header=BB2_3 Depth=1
	s_or_b64 exec, exec, s[10:11]
	s_mov_b32 s10, 0
                                        ; implicit-def: $vgpr7
.LBB2_33:                               ;   in Loop: Header=BB2_3 Depth=1
	s_or_saveexec_b64 s[0:1], s[0:1]
	v_mov_b32_e32 v22, s10
	s_xor_b64 exec, exec, s[0:1]
	s_cbranch_execz .LBB2_35
; %bb.34:                               ;   in Loop: Header=BB2_3 Depth=1
	flat_load_dwordx2 v[18:19], v[10:11]
	v_add_u32_e32 v22, -8, v7
	v_lshl_add_u64 v[10:11], v[10:11], 0, 8
	s_waitcnt vmcnt(0) lgkmcnt(0)
	v_and_b32_e32 v7, 0xff, v19
	v_and_b32_e32 v20, 0xff00, v19
	;; [unrolled: 1-line block ×4, first 2 shown]
	v_or_b32_e32 v7, v7, v20
	v_or3_b32 v18, v18, 0, 0
	v_or3_b32 v19, v7, v21, v19
.LBB2_35:                               ;   in Loop: Header=BB2_3 Depth=1
	s_or_b64 exec, exec, s[0:1]
	v_cmp_gt_u32_e32 vcc, 8, v22
                                        ; implicit-def: $sgpr10
	s_and_saveexec_b64 s[0:1], vcc
	s_xor_b64 s[0:1], exec, s[0:1]
	s_cbranch_execz .LBB2_41
; %bb.36:                               ;   in Loop: Header=BB2_3 Depth=1
	v_cmp_ne_u32_e32 vcc, 0, v22
	v_mov_b64_e32 v[20:21], 0
	s_and_saveexec_b64 s[10:11], vcc
	s_cbranch_execz .LBB2_40
; %bb.37:                               ;   in Loop: Header=BB2_3 Depth=1
	s_mov_b64 s[12:13], 0
	v_mov_b64_e32 v[20:21], 0
	s_mov_b64 s[14:15], 0
	s_mov_b64 s[16:17], 0
.LBB2_38:                               ;   Parent Loop BB2_3 Depth=1
                                        ; =>  This Inner Loop Header: Depth=2
	v_lshl_add_u64 v[24:25], v[10:11], 0, s[16:17]
	flat_load_ubyte v7, v[24:25]
	s_add_u32 s16, s16, 1
	v_mov_b32_e32 v25, s18
	s_addc_u32 s17, s17, 0
	v_cmp_eq_u32_e32 vcc, s16, v22
	s_waitcnt vmcnt(0) lgkmcnt(0)
	v_and_b32_e32 v24, 0xffff, v7
	v_lshlrev_b64 v[24:25], s14, v[24:25]
	s_add_u32 s14, s14, 8
	s_addc_u32 s15, s15, 0
	v_or_b32_e32 v21, v25, v21
	s_or_b64 s[12:13], vcc, s[12:13]
	v_or_b32_e32 v20, v24, v20
	s_andn2_b64 exec, exec, s[12:13]
	s_cbranch_execnz .LBB2_38
; %bb.39:                               ;   in Loop: Header=BB2_3 Depth=1
	s_or_b64 exec, exec, s[12:13]
.LBB2_40:                               ;   in Loop: Header=BB2_3 Depth=1
	s_or_b64 exec, exec, s[10:11]
	s_mov_b32 s10, 0
                                        ; implicit-def: $vgpr22
.LBB2_41:                               ;   in Loop: Header=BB2_3 Depth=1
	s_or_saveexec_b64 s[0:1], s[0:1]
	v_mov_b32_e32 v7, s10
	s_xor_b64 exec, exec, s[0:1]
	s_cbranch_execz .LBB2_43
; %bb.42:                               ;   in Loop: Header=BB2_3 Depth=1
	flat_load_dwordx2 v[20:21], v[10:11]
	v_add_u32_e32 v7, -8, v22
	v_lshl_add_u64 v[10:11], v[10:11], 0, 8
	s_waitcnt vmcnt(0) lgkmcnt(0)
	v_and_b32_e32 v22, 0xff, v21
	v_and_b32_e32 v23, 0xff00, v21
	;; [unrolled: 1-line block ×4, first 2 shown]
	v_or_b32_e32 v22, v22, v23
	v_or3_b32 v20, v20, 0, 0
	v_or3_b32 v21, v22, v24, v21
.LBB2_43:                               ;   in Loop: Header=BB2_3 Depth=1
	s_or_b64 exec, exec, s[0:1]
	v_cmp_gt_u32_e32 vcc, 8, v7
                                        ; implicit-def: $vgpr22_vgpr23
                                        ; implicit-def: $sgpr10
	s_and_saveexec_b64 s[0:1], vcc
	s_xor_b64 s[0:1], exec, s[0:1]
	s_cbranch_execz .LBB2_49
; %bb.44:                               ;   in Loop: Header=BB2_3 Depth=1
	v_cmp_ne_u32_e32 vcc, 0, v7
	v_mov_b64_e32 v[22:23], 0
	s_and_saveexec_b64 s[10:11], vcc
	s_cbranch_execz .LBB2_48
; %bb.45:                               ;   in Loop: Header=BB2_3 Depth=1
	s_mov_b64 s[12:13], 0
	v_mov_b64_e32 v[22:23], 0
	s_mov_b64 s[14:15], 0
	s_mov_b64 s[16:17], 0
.LBB2_46:                               ;   Parent Loop BB2_3 Depth=1
                                        ; =>  This Inner Loop Header: Depth=2
	v_lshl_add_u64 v[24:25], v[10:11], 0, s[16:17]
	flat_load_ubyte v24, v[24:25]
	s_add_u32 s16, s16, 1
	v_mov_b32_e32 v25, s18
	s_addc_u32 s17, s17, 0
	v_cmp_eq_u32_e32 vcc, s16, v7
	s_waitcnt vmcnt(0) lgkmcnt(0)
	v_and_b32_e32 v24, 0xffff, v24
	v_lshlrev_b64 v[24:25], s14, v[24:25]
	s_add_u32 s14, s14, 8
	s_addc_u32 s15, s15, 0
	v_or_b32_e32 v23, v25, v23
	s_or_b64 s[12:13], vcc, s[12:13]
	v_or_b32_e32 v22, v24, v22
	s_andn2_b64 exec, exec, s[12:13]
	s_cbranch_execnz .LBB2_46
; %bb.47:                               ;   in Loop: Header=BB2_3 Depth=1
	s_or_b64 exec, exec, s[12:13]
.LBB2_48:                               ;   in Loop: Header=BB2_3 Depth=1
	s_or_b64 exec, exec, s[10:11]
	s_mov_b32 s10, 0
                                        ; implicit-def: $vgpr7
.LBB2_49:                               ;   in Loop: Header=BB2_3 Depth=1
	s_or_saveexec_b64 s[0:1], s[0:1]
	v_mov_b32_e32 v26, s10
	s_xor_b64 exec, exec, s[0:1]
	s_cbranch_execz .LBB2_51
; %bb.50:                               ;   in Loop: Header=BB2_3 Depth=1
	flat_load_dwordx2 v[22:23], v[10:11]
	v_add_u32_e32 v26, -8, v7
	v_lshl_add_u64 v[10:11], v[10:11], 0, 8
	s_waitcnt vmcnt(0) lgkmcnt(0)
	v_and_b32_e32 v7, 0xff, v23
	v_and_b32_e32 v24, 0xff00, v23
	;; [unrolled: 1-line block ×4, first 2 shown]
	v_or_b32_e32 v7, v7, v24
	v_or3_b32 v22, v22, 0, 0
	v_or3_b32 v23, v7, v25, v23
.LBB2_51:                               ;   in Loop: Header=BB2_3 Depth=1
	s_or_b64 exec, exec, s[0:1]
	v_cmp_gt_u32_e32 vcc, 8, v26
	s_and_saveexec_b64 s[0:1], vcc
	s_xor_b64 s[0:1], exec, s[0:1]
	s_cbranch_execz .LBB2_57
; %bb.52:                               ;   in Loop: Header=BB2_3 Depth=1
	v_cmp_ne_u32_e32 vcc, 0, v26
	v_mov_b64_e32 v[24:25], 0
	s_and_saveexec_b64 s[10:11], vcc
	s_cbranch_execz .LBB2_56
; %bb.53:                               ;   in Loop: Header=BB2_3 Depth=1
	s_mov_b64 s[12:13], 0
	v_mov_b64_e32 v[24:25], 0
	s_mov_b64 s[14:15], 0
.LBB2_54:                               ;   Parent Loop BB2_3 Depth=1
                                        ; =>  This Inner Loop Header: Depth=2
	flat_load_ubyte v7, v[10:11]
	v_mov_b32_e32 v29, s18
	v_add_u32_e32 v26, -1, v26
	v_cmp_eq_u32_e32 vcc, 0, v26
	v_lshl_add_u64 v[10:11], v[10:11], 0, 1
	s_waitcnt vmcnt(0) lgkmcnt(0)
	v_and_b32_e32 v28, 0xffff, v7
	v_lshlrev_b64 v[28:29], s14, v[28:29]
	s_add_u32 s14, s14, 8
	s_addc_u32 s15, s15, 0
	v_or_b32_e32 v25, v29, v25
	s_or_b64 s[12:13], vcc, s[12:13]
	v_or_b32_e32 v24, v28, v24
	s_andn2_b64 exec, exec, s[12:13]
	s_cbranch_execnz .LBB2_54
; %bb.55:                               ;   in Loop: Header=BB2_3 Depth=1
	s_or_b64 exec, exec, s[12:13]
.LBB2_56:                               ;   in Loop: Header=BB2_3 Depth=1
	s_or_b64 exec, exec, s[10:11]
                                        ; implicit-def: $vgpr10_vgpr11
.LBB2_57:                               ;   in Loop: Header=BB2_3 Depth=1
	s_andn2_saveexec_b64 s[0:1], s[0:1]
	s_cbranch_execz .LBB2_59
; %bb.58:                               ;   in Loop: Header=BB2_3 Depth=1
	flat_load_dwordx2 v[10:11], v[10:11]
	s_waitcnt vmcnt(0) lgkmcnt(0)
	v_and_b32_e32 v7, 0xff, v11
	v_and_b32_e32 v24, 0xff00, v11
	;; [unrolled: 1-line block ×4, first 2 shown]
	v_or_b32_e32 v7, v7, v24
	v_or3_b32 v25, v7, v25, v11
	v_or3_b32 v24, v10, 0, 0
.LBB2_59:                               ;   in Loop: Header=BB2_3 Depth=1
	s_or_b64 exec, exec, s[0:1]
	v_readfirstlane_b32 s0, v32
	v_mov_b64_e32 v[10:11], 0
	s_nop 0
	v_cmp_eq_u32_e64 s[0:1], s0, v32
	s_and_saveexec_b64 s[10:11], s[0:1]
	s_cbranch_execz .LBB2_65
; %bb.60:                               ;   in Loop: Header=BB2_3 Depth=1
	s_waitcnt lgkmcnt(0)
	global_load_dwordx2 v[28:29], v31, s[6:7] offset:24 sc0 sc1
	s_waitcnt vmcnt(0)
	buffer_inv sc0 sc1
	global_load_dwordx2 v[10:11], v31, s[6:7] offset:40
	global_load_dwordx2 v[26:27], v31, s[6:7]
	s_waitcnt vmcnt(1)
	v_and_b32_e32 v7, v10, v28
	v_and_b32_e32 v10, v11, v29
	v_mul_lo_u32 v10, v10, 24
	v_mul_hi_u32 v11, v7, 24
	v_add_u32_e32 v11, v11, v10
	v_mul_lo_u32 v10, v7, 24
	s_waitcnt vmcnt(0)
	v_lshl_add_u64 v[10:11], v[26:27], 0, v[10:11]
	global_load_dwordx2 v[26:27], v[10:11], off sc0 sc1
	s_waitcnt vmcnt(0)
	global_atomic_cmpswap_x2 v[10:11], v31, v[26:29], s[6:7] offset:24 sc0 sc1
	s_waitcnt vmcnt(0)
	buffer_inv sc0 sc1
	v_cmp_ne_u64_e32 vcc, v[10:11], v[28:29]
	s_and_saveexec_b64 s[12:13], vcc
	s_cbranch_execz .LBB2_64
; %bb.61:                               ;   in Loop: Header=BB2_3 Depth=1
	s_mov_b64 s[14:15], 0
.LBB2_62:                               ;   Parent Loop BB2_3 Depth=1
                                        ; =>  This Inner Loop Header: Depth=2
	s_sleep 1
	global_load_dwordx2 v[26:27], v31, s[6:7] offset:40
	global_load_dwordx2 v[36:37], v31, s[6:7]
	v_mov_b64_e32 v[28:29], v[10:11]
	s_waitcnt vmcnt(1)
	v_and_b32_e32 v10, v26, v28
	s_waitcnt vmcnt(0)
	v_mad_u64_u32 v[10:11], s[16:17], v10, 24, v[36:37]
	v_and_b32_e32 v7, v27, v29
	v_mov_b32_e32 v26, v11
	v_mad_u64_u32 v[26:27], s[16:17], v7, 24, v[26:27]
	v_mov_b32_e32 v11, v26
	global_load_dwordx2 v[26:27], v[10:11], off sc0 sc1
	s_waitcnt vmcnt(0)
	global_atomic_cmpswap_x2 v[10:11], v31, v[26:29], s[6:7] offset:24 sc0 sc1
	s_waitcnt vmcnt(0)
	buffer_inv sc0 sc1
	v_cmp_eq_u64_e32 vcc, v[10:11], v[28:29]
	s_or_b64 s[14:15], vcc, s[14:15]
	s_andn2_b64 exec, exec, s[14:15]
	s_cbranch_execnz .LBB2_62
; %bb.63:                               ;   in Loop: Header=BB2_3 Depth=1
	s_or_b64 exec, exec, s[14:15]
.LBB2_64:                               ;   in Loop: Header=BB2_3 Depth=1
	s_or_b64 exec, exec, s[12:13]
.LBB2_65:                               ;   in Loop: Header=BB2_3 Depth=1
	s_or_b64 exec, exec, s[10:11]
	s_waitcnt lgkmcnt(0)
	global_load_dwordx2 v[36:37], v31, s[6:7] offset:40
	global_load_dwordx4 v[26:29], v31, s[6:7]
	v_readfirstlane_b32 s10, v10
	v_readfirstlane_b32 s11, v11
	s_mov_b64 s[12:13], exec
	s_waitcnt vmcnt(1)
	v_readfirstlane_b32 s14, v36
	v_readfirstlane_b32 s15, v37
	s_and_b64 s[14:15], s[10:11], s[14:15]
	s_mul_i32 s16, s15, 24
	s_mul_hi_u32 s17, s14, 24
	s_add_i32 s17, s17, s16
	s_mul_i32 s16, s14, 24
	s_waitcnt vmcnt(0)
	v_lshl_add_u64 v[36:37], v[26:27], 0, s[16:17]
	s_and_saveexec_b64 s[16:17], s[0:1]
	s_cbranch_execz .LBB2_67
; %bb.66:                               ;   in Loop: Header=BB2_3 Depth=1
	v_mov_b64_e32 v[10:11], s[12:13]
	global_store_dwordx4 v[36:37], v[10:13], off offset:8
.LBB2_67:                               ;   in Loop: Header=BB2_3 Depth=1
	s_or_b64 exec, exec, s[16:17]
	s_lshl_b64 s[12:13], s[14:15], 12
	v_or_b32_e32 v7, 0, v1
	v_cmp_lt_u64_e32 vcc, 56, v[4:5]
	v_lshl_add_u64 v[10:11], v[28:29], 0, s[12:13]
	v_or_b32_e32 v28, v0, v6
	v_cndmask_b32_e32 v1, v7, v1, vcc
	v_lshl_add_u32 v7, v34, 2, 28
	v_cndmask_b32_e32 v0, v28, v0, vcc
	v_and_b32_e32 v7, 0x1e0, v7
	v_and_or_b32 v0, v0, s19, v7
	v_lshlrev_b32_e32 v30, 6, v32
	v_readfirstlane_b32 s12, v10
	v_readfirstlane_b32 s13, v11
	s_nop 4
	global_store_dwordx4 v30, v[0:3], s[12:13]
	global_store_dwordx4 v30, v[14:17], s[12:13] offset:16
	global_store_dwordx4 v30, v[18:21], s[12:13] offset:32
	global_store_dwordx4 v30, v[22:25], s[12:13] offset:48
	s_and_saveexec_b64 s[12:13], s[0:1]
	s_cbranch_execz .LBB2_75
; %bb.68:                               ;   in Loop: Header=BB2_3 Depth=1
	global_load_dwordx2 v[18:19], v31, s[6:7] offset:32 sc0 sc1
	global_load_dwordx2 v[0:1], v31, s[6:7] offset:40
	v_mov_b32_e32 v16, s10
	v_mov_b32_e32 v17, s11
	s_waitcnt vmcnt(0)
	v_readfirstlane_b32 s14, v0
	v_readfirstlane_b32 s15, v1
	s_and_b64 s[14:15], s[14:15], s[10:11]
	s_mul_i32 s15, s15, 24
	s_mul_hi_u32 s16, s14, 24
	s_mul_i32 s14, s14, 24
	s_add_i32 s15, s16, s15
	v_lshl_add_u64 v[14:15], v[26:27], 0, s[14:15]
	global_store_dwordx2 v[14:15], v[18:19], off
	buffer_wbl2 sc0 sc1
	s_waitcnt vmcnt(0)
	global_atomic_cmpswap_x2 v[2:3], v31, v[16:19], s[6:7] offset:32 sc0 sc1
	s_waitcnt vmcnt(0)
	v_cmp_ne_u64_e32 vcc, v[2:3], v[18:19]
	s_and_saveexec_b64 s[14:15], vcc
	s_cbranch_execz .LBB2_71
; %bb.69:                               ;   in Loop: Header=BB2_3 Depth=1
	s_mov_b64 s[16:17], 0
.LBB2_70:                               ;   Parent Loop BB2_3 Depth=1
                                        ; =>  This Inner Loop Header: Depth=2
	s_sleep 1
	global_store_dwordx2 v[14:15], v[2:3], off
	v_mov_b32_e32 v0, s10
	v_mov_b32_e32 v1, s11
	buffer_wbl2 sc0 sc1
	s_waitcnt vmcnt(0)
	global_atomic_cmpswap_x2 v[0:1], v31, v[0:3], s[6:7] offset:32 sc0 sc1
	s_waitcnt vmcnt(0)
	v_cmp_eq_u64_e32 vcc, v[0:1], v[2:3]
	s_or_b64 s[16:17], vcc, s[16:17]
	v_mov_b64_e32 v[2:3], v[0:1]
	s_andn2_b64 exec, exec, s[16:17]
	s_cbranch_execnz .LBB2_70
.LBB2_71:                               ;   in Loop: Header=BB2_3 Depth=1
	s_or_b64 exec, exec, s[14:15]
	global_load_dwordx2 v[0:1], v31, s[6:7] offset:16
	s_mov_b64 s[16:17], exec
	v_mbcnt_lo_u32_b32 v2, s16, 0
	v_mbcnt_hi_u32_b32 v2, s17, v2
	v_cmp_eq_u32_e32 vcc, 0, v2
	s_and_saveexec_b64 s[14:15], vcc
	s_cbranch_execz .LBB2_73
; %bb.72:                               ;   in Loop: Header=BB2_3 Depth=1
	s_bcnt1_i32_b64 s16, s[16:17]
	v_mov_b32_e32 v2, s16
	v_mov_b32_e32 v3, v31
	buffer_wbl2 sc0 sc1
	s_waitcnt vmcnt(0)
	global_atomic_add_x2 v[0:1], v[2:3], off offset:8 sc1
.LBB2_73:                               ;   in Loop: Header=BB2_3 Depth=1
	s_or_b64 exec, exec, s[14:15]
	s_waitcnt vmcnt(0)
	global_load_dwordx2 v[2:3], v[0:1], off offset:16
	s_waitcnt vmcnt(0)
	v_cmp_eq_u64_e32 vcc, 0, v[2:3]
	s_cbranch_vccnz .LBB2_75
; %bb.74:                               ;   in Loop: Header=BB2_3 Depth=1
	global_load_dword v0, v[0:1], off offset:24
	v_mov_b32_e32 v1, v31
	buffer_wbl2 sc0 sc1
	s_waitcnt vmcnt(0)
	global_store_dwordx2 v[2:3], v[0:1], off sc0 sc1
	v_and_b32_e32 v0, 0xffffff, v0
	s_nop 0
	v_readfirstlane_b32 m0, v0
	s_sendmsg sendmsg(MSG_INTERRUPT)
.LBB2_75:                               ;   in Loop: Header=BB2_3 Depth=1
	s_or_b64 exec, exec, s[12:13]
	v_lshl_add_u64 v[0:1], v[10:11], 0, v[30:31]
	s_branch .LBB2_79
.LBB2_76:                               ;   in Loop: Header=BB2_79 Depth=2
	s_or_b64 exec, exec, s[12:13]
	v_readfirstlane_b32 s12, v2
	s_cmp_eq_u32 s12, 0
	s_cbranch_scc1 .LBB2_78
; %bb.77:                               ;   in Loop: Header=BB2_79 Depth=2
	s_sleep 1
	s_cbranch_execnz .LBB2_79
	s_branch .LBB2_81
.LBB2_78:                               ;   in Loop: Header=BB2_3 Depth=1
	s_branch .LBB2_81
.LBB2_79:                               ;   Parent Loop BB2_3 Depth=1
                                        ; =>  This Inner Loop Header: Depth=2
	v_mov_b32_e32 v2, 1
	s_and_saveexec_b64 s[12:13], s[0:1]
	s_cbranch_execz .LBB2_76
; %bb.80:                               ;   in Loop: Header=BB2_79 Depth=2
	global_load_dword v2, v[36:37], off offset:20 sc0 sc1
	s_waitcnt vmcnt(0)
	buffer_inv sc0 sc1
	v_and_b32_e32 v2, 1, v2
	s_branch .LBB2_76
.LBB2_81:                               ;   in Loop: Header=BB2_3 Depth=1
	global_load_dwordx4 v[0:3], v[0:1], off
	s_and_saveexec_b64 s[12:13], s[0:1]
	s_cbranch_execz .LBB2_2
; %bb.82:                               ;   in Loop: Header=BB2_3 Depth=1
	global_load_dwordx2 v[2:3], v31, s[6:7] offset:40
	global_load_dwordx2 v[10:11], v31, s[6:7] offset:24 sc0 sc1
	global_load_dwordx2 v[18:19], v31, s[6:7]
	s_waitcnt vmcnt(2)
	v_lshl_add_u64 v[14:15], v[2:3], 0, 1
	v_lshl_add_u64 v[20:21], v[14:15], 0, s[10:11]
	v_cmp_eq_u64_e32 vcc, 0, v[20:21]
	s_waitcnt vmcnt(1)
	v_mov_b32_e32 v16, v10
	v_mov_b32_e32 v17, v11
	v_cndmask_b32_e32 v15, v21, v15, vcc
	v_cndmask_b32_e32 v14, v20, v14, vcc
	v_and_b32_e32 v3, v15, v3
	v_and_b32_e32 v2, v14, v2
	v_mul_lo_u32 v3, v3, 24
	v_mul_hi_u32 v7, v2, 24
	v_mul_lo_u32 v2, v2, 24
	v_add_u32_e32 v3, v7, v3
	s_waitcnt vmcnt(0)
	v_lshl_add_u64 v[2:3], v[18:19], 0, v[2:3]
	global_store_dwordx2 v[2:3], v[10:11], off
	buffer_wbl2 sc0 sc1
	s_waitcnt vmcnt(0)
	global_atomic_cmpswap_x2 v[16:17], v31, v[14:17], s[6:7] offset:24 sc0 sc1
	s_waitcnt vmcnt(0)
	v_cmp_ne_u64_e32 vcc, v[16:17], v[10:11]
	s_and_b64 exec, exec, vcc
	s_cbranch_execz .LBB2_2
; %bb.83:                               ;   in Loop: Header=BB2_3 Depth=1
	s_mov_b64 s[0:1], 0
.LBB2_84:                               ;   Parent Loop BB2_3 Depth=1
                                        ; =>  This Inner Loop Header: Depth=2
	s_sleep 1
	global_store_dwordx2 v[2:3], v[16:17], off
	buffer_wbl2 sc0 sc1
	s_waitcnt vmcnt(0)
	global_atomic_cmpswap_x2 v[10:11], v31, v[14:17], s[6:7] offset:24 sc0 sc1
	s_waitcnt vmcnt(0)
	v_cmp_eq_u64_e32 vcc, v[10:11], v[16:17]
	s_or_b64 s[0:1], vcc, s[0:1]
	v_mov_b64_e32 v[16:17], v[10:11]
	s_andn2_b64 exec, exec, s[0:1]
	s_cbranch_execnz .LBB2_84
	s_branch .LBB2_2
.LBB2_85:
	s_or_b64 exec, exec, s[2:3]
                                        ; implicit-def: $vgpr0
                                        ; implicit-def: $vgpr1
                                        ; implicit-def: $vgpr2
.LBB2_86:
	s_andn2_saveexec_b64 s[2:3], s[4:5]
	s_cbranch_execz .LBB2_109
; %bb.87:
	s_load_dwordx2 s[4:5], s[8:9], 0x50
	s_waitcnt vmcnt(0)
	v_mbcnt_hi_u32_b32 v3, -1, v2
	v_mov_b64_e32 v[8:9], 0
	v_readfirstlane_b32 s0, v3
	s_nop 1
	v_cmp_eq_u32_e64 s[0:1], s0, v3
	s_and_saveexec_b64 s[6:7], s[0:1]
	s_cbranch_execz .LBB2_93
; %bb.88:
	v_mov_b32_e32 v2, 0
	s_waitcnt lgkmcnt(0)
	global_load_dwordx2 v[6:7], v2, s[4:5] offset:24 sc0 sc1
	s_waitcnt vmcnt(0)
	buffer_inv sc0 sc1
	global_load_dwordx2 v[4:5], v2, s[4:5] offset:40
	global_load_dwordx2 v[8:9], v2, s[4:5]
	s_waitcnt vmcnt(1)
	v_and_b32_e32 v4, v4, v6
	v_and_b32_e32 v5, v5, v7
	v_mul_lo_u32 v5, v5, 24
	v_mul_hi_u32 v10, v4, 24
	v_add_u32_e32 v5, v10, v5
	v_mul_lo_u32 v4, v4, 24
	s_waitcnt vmcnt(0)
	v_lshl_add_u64 v[4:5], v[8:9], 0, v[4:5]
	global_load_dwordx2 v[4:5], v[4:5], off sc0 sc1
	s_waitcnt vmcnt(0)
	global_atomic_cmpswap_x2 v[8:9], v2, v[4:7], s[4:5] offset:24 sc0 sc1
	s_waitcnt vmcnt(0)
	buffer_inv sc0 sc1
	v_cmp_ne_u64_e32 vcc, v[8:9], v[6:7]
	s_and_saveexec_b64 s[8:9], vcc
	s_cbranch_execz .LBB2_92
; %bb.89:
	s_mov_b64 s[10:11], 0
.LBB2_90:                               ; =>This Inner Loop Header: Depth=1
	s_sleep 1
	global_load_dwordx2 v[4:5], v2, s[4:5] offset:40
	global_load_dwordx2 v[10:11], v2, s[4:5]
	v_mov_b64_e32 v[6:7], v[8:9]
	s_waitcnt vmcnt(1)
	v_and_b32_e32 v4, v4, v6
	v_and_b32_e32 v9, v5, v7
	s_waitcnt vmcnt(0)
	v_mad_u64_u32 v[4:5], s[12:13], v4, 24, v[10:11]
	v_mov_b32_e32 v8, v5
	v_mad_u64_u32 v[8:9], s[12:13], v9, 24, v[8:9]
	v_mov_b32_e32 v5, v8
	global_load_dwordx2 v[4:5], v[4:5], off sc0 sc1
	s_waitcnt vmcnt(0)
	global_atomic_cmpswap_x2 v[8:9], v2, v[4:7], s[4:5] offset:24 sc0 sc1
	s_waitcnt vmcnt(0)
	buffer_inv sc0 sc1
	v_cmp_eq_u64_e32 vcc, v[8:9], v[6:7]
	s_or_b64 s[10:11], vcc, s[10:11]
	s_andn2_b64 exec, exec, s[10:11]
	s_cbranch_execnz .LBB2_90
; %bb.91:
	s_or_b64 exec, exec, s[10:11]
.LBB2_92:
	s_or_b64 exec, exec, s[8:9]
.LBB2_93:
	s_or_b64 exec, exec, s[6:7]
	v_mov_b32_e32 v2, 0
	s_waitcnt lgkmcnt(0)
	global_load_dwordx2 v[10:11], v2, s[4:5] offset:40
	global_load_dwordx4 v[4:7], v2, s[4:5]
	v_readfirstlane_b32 s6, v8
	v_readfirstlane_b32 s7, v9
	s_mov_b64 s[8:9], exec
	s_waitcnt vmcnt(1)
	v_readfirstlane_b32 s10, v10
	v_readfirstlane_b32 s11, v11
	s_and_b64 s[10:11], s[6:7], s[10:11]
	s_mul_i32 s12, s11, 24
	s_mul_hi_u32 s13, s10, 24
	s_add_i32 s13, s13, s12
	s_mul_i32 s12, s10, 24
	s_waitcnt vmcnt(0)
	v_lshl_add_u64 v[8:9], v[4:5], 0, s[12:13]
	s_and_saveexec_b64 s[12:13], s[0:1]
	s_cbranch_execz .LBB2_95
; %bb.94:
	v_mov_b64_e32 v[10:11], s[8:9]
	v_mov_b32_e32 v12, 2
	v_mov_b32_e32 v13, 1
	global_store_dwordx4 v[8:9], v[10:13], off offset:8
.LBB2_95:
	s_or_b64 exec, exec, s[12:13]
	s_lshl_b64 s[8:9], s[10:11], 12
	v_lshl_add_u64 v[6:7], v[6:7], 0, s[8:9]
	s_movk_i32 s8, 0xff1f
	v_and_or_b32 v0, v0, s8, 32
	s_mov_b32 s8, 0
	v_lshlrev_b32_e32 v10, 6, v3
	v_mov_b32_e32 v3, v2
	v_readfirstlane_b32 s12, v6
	v_readfirstlane_b32 s13, v7
	s_mov_b32 s9, s8
	s_mov_b32 s10, s8
	;; [unrolled: 1-line block ×3, first 2 shown]
	s_nop 1
	global_store_dwordx4 v10, v[0:3], s[12:13]
	s_nop 1
	v_mov_b64_e32 v[0:1], s[8:9]
	v_mov_b64_e32 v[2:3], s[10:11]
	global_store_dwordx4 v10, v[0:3], s[12:13] offset:16
	global_store_dwordx4 v10, v[0:3], s[12:13] offset:32
	;; [unrolled: 1-line block ×3, first 2 shown]
	s_and_saveexec_b64 s[8:9], s[0:1]
	s_cbranch_execz .LBB2_103
; %bb.96:
	v_mov_b32_e32 v6, 0
	global_load_dwordx2 v[12:13], v6, s[4:5] offset:32 sc0 sc1
	global_load_dwordx2 v[0:1], v6, s[4:5] offset:40
	v_mov_b32_e32 v10, s6
	v_mov_b32_e32 v11, s7
	s_waitcnt vmcnt(0)
	v_and_b32_e32 v0, s6, v0
	v_and_b32_e32 v1, s7, v1
	v_mul_lo_u32 v1, v1, 24
	v_mul_hi_u32 v2, v0, 24
	v_mul_lo_u32 v0, v0, 24
	v_add_u32_e32 v1, v2, v1
	v_lshl_add_u64 v[4:5], v[4:5], 0, v[0:1]
	global_store_dwordx2 v[4:5], v[12:13], off
	buffer_wbl2 sc0 sc1
	s_waitcnt vmcnt(0)
	global_atomic_cmpswap_x2 v[2:3], v6, v[10:13], s[4:5] offset:32 sc0 sc1
	s_waitcnt vmcnt(0)
	v_cmp_ne_u64_e32 vcc, v[2:3], v[12:13]
	s_and_saveexec_b64 s[10:11], vcc
	s_cbranch_execz .LBB2_99
; %bb.97:
	s_mov_b64 s[12:13], 0
.LBB2_98:                               ; =>This Inner Loop Header: Depth=1
	s_sleep 1
	global_store_dwordx2 v[4:5], v[2:3], off
	v_mov_b32_e32 v0, s6
	v_mov_b32_e32 v1, s7
	buffer_wbl2 sc0 sc1
	s_waitcnt vmcnt(0)
	global_atomic_cmpswap_x2 v[0:1], v6, v[0:3], s[4:5] offset:32 sc0 sc1
	s_waitcnt vmcnt(0)
	v_cmp_eq_u64_e32 vcc, v[0:1], v[2:3]
	s_or_b64 s[12:13], vcc, s[12:13]
	v_mov_b64_e32 v[2:3], v[0:1]
	s_andn2_b64 exec, exec, s[12:13]
	s_cbranch_execnz .LBB2_98
.LBB2_99:
	s_or_b64 exec, exec, s[10:11]
	v_mov_b32_e32 v3, 0
	global_load_dwordx2 v[0:1], v3, s[4:5] offset:16
	s_mov_b64 s[10:11], exec
	v_mbcnt_lo_u32_b32 v2, s10, 0
	v_mbcnt_hi_u32_b32 v2, s11, v2
	v_cmp_eq_u32_e32 vcc, 0, v2
	s_and_saveexec_b64 s[12:13], vcc
	s_cbranch_execz .LBB2_101
; %bb.100:
	s_bcnt1_i32_b64 s10, s[10:11]
	v_mov_b32_e32 v2, s10
	buffer_wbl2 sc0 sc1
	s_waitcnt vmcnt(0)
	global_atomic_add_x2 v[0:1], v[2:3], off offset:8 sc1
.LBB2_101:
	s_or_b64 exec, exec, s[12:13]
	s_waitcnt vmcnt(0)
	global_load_dwordx2 v[2:3], v[0:1], off offset:16
	s_waitcnt vmcnt(0)
	v_cmp_eq_u64_e32 vcc, 0, v[2:3]
	s_cbranch_vccnz .LBB2_103
; %bb.102:
	global_load_dword v0, v[0:1], off offset:24
	v_mov_b32_e32 v1, 0
	buffer_wbl2 sc0 sc1
	s_waitcnt vmcnt(0)
	global_store_dwordx2 v[2:3], v[0:1], off sc0 sc1
	v_and_b32_e32 v0, 0xffffff, v0
	s_nop 0
	v_readfirstlane_b32 m0, v0
	s_sendmsg sendmsg(MSG_INTERRUPT)
.LBB2_103:
	s_or_b64 exec, exec, s[8:9]
	s_branch .LBB2_107
.LBB2_104:                              ;   in Loop: Header=BB2_107 Depth=1
	s_or_b64 exec, exec, s[8:9]
	v_readfirstlane_b32 s8, v0
	s_cmp_eq_u32 s8, 0
	s_cbranch_scc1 .LBB2_106
; %bb.105:                              ;   in Loop: Header=BB2_107 Depth=1
	s_sleep 1
	s_cbranch_execnz .LBB2_107
	s_branch .LBB2_110
.LBB2_106:
	s_branch .LBB2_110
.LBB2_107:                              ; =>This Inner Loop Header: Depth=1
	v_mov_b32_e32 v0, 1
	s_and_saveexec_b64 s[8:9], s[0:1]
	s_cbranch_execz .LBB2_104
; %bb.108:                              ;   in Loop: Header=BB2_107 Depth=1
	global_load_dword v0, v[8:9], off offset:20 sc0 sc1
	s_waitcnt vmcnt(0)
	buffer_inv sc0 sc1
	v_and_b32_e32 v0, 1, v0
	s_branch .LBB2_104
.LBB2_109:
	s_or_b64 exec, exec, s[2:3]
	s_waitcnt vmcnt(0) lgkmcnt(0)
	s_setpc_b64 s[30:31]
.LBB2_110:
	s_and_saveexec_b64 s[8:9], s[0:1]
	s_cbranch_execz .LBB2_113
; %bb.111:
	v_mov_b32_e32 v6, 0
	global_load_dwordx2 v[4:5], v6, s[4:5] offset:40
	global_load_dwordx2 v[8:9], v6, s[4:5] offset:24 sc0 sc1
	global_load_dwordx2 v[10:11], v6, s[4:5]
	s_mov_b64 s[0:1], 0
	s_waitcnt vmcnt(2)
	v_lshl_add_u64 v[0:1], v[4:5], 0, 1
	v_lshl_add_u64 v[12:13], v[0:1], 0, s[6:7]
	v_cmp_eq_u64_e32 vcc, 0, v[12:13]
	s_waitcnt vmcnt(1)
	v_mov_b32_e32 v2, v8
	v_cndmask_b32_e32 v1, v13, v1, vcc
	v_cndmask_b32_e32 v0, v12, v0, vcc
	v_and_b32_e32 v3, v1, v5
	v_and_b32_e32 v4, v0, v4
	v_mul_lo_u32 v3, v3, 24
	v_mul_hi_u32 v5, v4, 24
	v_mul_lo_u32 v4, v4, 24
	v_add_u32_e32 v5, v5, v3
	s_waitcnt vmcnt(0)
	v_lshl_add_u64 v[4:5], v[10:11], 0, v[4:5]
	global_store_dwordx2 v[4:5], v[8:9], off
	v_mov_b32_e32 v3, v9
	buffer_wbl2 sc0 sc1
	s_waitcnt vmcnt(0)
	global_atomic_cmpswap_x2 v[2:3], v6, v[0:3], s[4:5] offset:24 sc0 sc1
	s_waitcnt vmcnt(0)
	v_cmp_ne_u64_e32 vcc, v[2:3], v[8:9]
	s_and_b64 exec, exec, vcc
	s_cbranch_execz .LBB2_113
.LBB2_112:                              ; =>This Inner Loop Header: Depth=1
	s_sleep 1
	global_store_dwordx2 v[4:5], v[2:3], off
	buffer_wbl2 sc0 sc1
	s_waitcnt vmcnt(0)
	global_atomic_cmpswap_x2 v[8:9], v6, v[0:3], s[4:5] offset:24 sc0 sc1
	s_waitcnt vmcnt(0)
	v_cmp_eq_u64_e32 vcc, v[8:9], v[2:3]
	s_or_b64 s[0:1], vcc, s[0:1]
	v_mov_b64_e32 v[2:3], v[8:9]
	s_andn2_b64 exec, exec, s[0:1]
	s_cbranch_execnz .LBB2_112
.LBB2_113:
	s_or_b64 exec, exec, s[8:9]
	s_or_b64 exec, exec, s[2:3]
	s_waitcnt vmcnt(0) lgkmcnt(0)
	s_setpc_b64 s[30:31]
.Lfunc_end2:
	.size	__ockl_fprintf_append_string_n, .Lfunc_end2-__ockl_fprintf_append_string_n
                                        ; -- End function
	.section	.AMDGPU.csdata,"",@progbits
; Function info:
; codeLenInByte = 4188
; NumSgprs: 38
; NumVgprs: 38
; NumAgprs: 0
; TotalNumVgprs: 38
; ScratchSize: 0
; MemoryBound: 0
	.text
	.p2align	2                               ; -- Begin function __assert_fail
	.type	__assert_fail,@function
__assert_fail:                          ; @__assert_fail
; %bb.0:
	s_waitcnt vmcnt(0) expcnt(0) lgkmcnt(0)
	s_mov_b32 s20, s33
	s_mov_b32 s33, s32
	s_xor_saveexec_b64 s[0:1], -1
	scratch_store_dword off, v39, s33 offset:48 ; 4-byte Folded Spill
	s_mov_b64 exec, s[0:1]
	v_writelane_b32 v39, s30, 0
	s_add_i32 s32, s32, 64
	s_nop 0
	v_writelane_b32 v39, s31, 1
	s_getpc_b64 s[0:1]
	s_add_u32 s0, s0, __const.__assert_fail.fmt@rel32@lo+4
	s_addc_u32 s1, s1, __const.__assert_fail.fmt@rel32@hi+12
	s_load_dwordx4 s[0:3], s[0:1], 0x0
	s_getpc_b64 s[4:5]
	s_add_u32 s4, s4, __const.__assert_fail.fmt@rel32@lo+20
	s_addc_u32 s5, s5, __const.__assert_fail.fmt@rel32@hi+28
	s_load_dwordx4 s[4:7], s[4:5], 0x0
	v_mov_b32_e32 v4, v0
	v_mov_b32_e32 v0, 0xa2e
	v_mov_b32_e32 v5, v1
	scratch_store_short off, v0, s33 offset:44
	s_waitcnt lgkmcnt(0)
	v_mov_b64_e32 v[0:1], s[0:1]
	v_mov_b64_e32 v[2:3], s[2:3]
	scratch_store_dwordx4 off, v[0:3], s33
	s_load_dwordx2 s[2:3], s[8:9], 0x50
	v_mov_b32_e32 v8, 0
	v_mov_b64_e32 v[0:1], s[4:5]
	v_mov_b64_e32 v[2:3], s[6:7]
	scratch_store_dwordx4 off, v[0:3], s33 offset:16
	v_mov_b64_e32 v[6:7], 0
	scratch_store_byte off, v8, s33 offset:46
	v_mov_b32_e32 v0, 0x73256020
	v_mov_b32_e32 v1, 0x61662027
	;; [unrolled: 1-line block ×3, first 2 shown]
	scratch_store_dwordx3 off, v[0:2], s33 offset:32
	s_nop 1
	v_mbcnt_lo_u32_b32 v0, -1, 0
	v_mbcnt_hi_u32_b32 v38, -1, v0
	s_nop 0
	v_readfirstlane_b32 s0, v38
	s_nop 1
	v_cmp_eq_u32_e64 s[0:1], s0, v38
	s_and_saveexec_b64 s[4:5], s[0:1]
	s_cbranch_execz .LBB3_6
; %bb.1:
	s_waitcnt lgkmcnt(0)
	global_load_dwordx2 v[2:3], v8, s[2:3] offset:24 sc0 sc1
	s_waitcnt vmcnt(0)
	buffer_inv sc0 sc1
	global_load_dwordx2 v[0:1], v8, s[2:3] offset:40
	global_load_dwordx2 v[6:7], v8, s[2:3]
	s_waitcnt vmcnt(1)
	v_and_b32_e32 v0, v0, v2
	v_and_b32_e32 v1, v1, v3
	v_mul_lo_u32 v1, v1, 24
	v_mul_hi_u32 v9, v0, 24
	v_add_u32_e32 v1, v9, v1
	v_mul_lo_u32 v0, v0, 24
	s_waitcnt vmcnt(0)
	v_lshl_add_u64 v[0:1], v[6:7], 0, v[0:1]
	global_load_dwordx2 v[0:1], v[0:1], off sc0 sc1
	s_waitcnt vmcnt(0)
	global_atomic_cmpswap_x2 v[6:7], v8, v[0:3], s[2:3] offset:24 sc0 sc1
	s_waitcnt vmcnt(0)
	buffer_inv sc0 sc1
	v_cmp_ne_u64_e32 vcc, v[6:7], v[2:3]
	s_and_saveexec_b64 s[6:7], vcc
	s_cbranch_execz .LBB3_5
; %bb.2:
	s_mov_b64 s[10:11], 0
.LBB3_3:                                ; =>This Inner Loop Header: Depth=1
	s_sleep 1
	global_load_dwordx2 v[0:1], v8, s[2:3] offset:40
	global_load_dwordx2 v[10:11], v8, s[2:3]
	v_mov_b64_e32 v[2:3], v[6:7]
	s_waitcnt vmcnt(1)
	v_and_b32_e32 v0, v0, v2
	v_and_b32_e32 v7, v1, v3
	s_waitcnt vmcnt(0)
	v_mad_u64_u32 v[0:1], s[12:13], v0, 24, v[10:11]
	v_mov_b32_e32 v6, v1
	v_mad_u64_u32 v[6:7], s[12:13], v7, 24, v[6:7]
	v_mov_b32_e32 v1, v6
	global_load_dwordx2 v[0:1], v[0:1], off sc0 sc1
	s_waitcnt vmcnt(0)
	global_atomic_cmpswap_x2 v[6:7], v8, v[0:3], s[2:3] offset:24 sc0 sc1
	s_waitcnt vmcnt(0)
	buffer_inv sc0 sc1
	v_cmp_eq_u64_e32 vcc, v[6:7], v[2:3]
	s_or_b64 s[10:11], vcc, s[10:11]
	s_andn2_b64 exec, exec, s[10:11]
	s_cbranch_execnz .LBB3_3
; %bb.4:
	s_or_b64 exec, exec, s[10:11]
.LBB3_5:
	s_or_b64 exec, exec, s[6:7]
.LBB3_6:
	s_or_b64 exec, exec, s[4:5]
	s_waitcnt lgkmcnt(0)
	global_load_dwordx2 v[10:11], v8, s[2:3] offset:40
	global_load_dwordx4 v[0:3], v8, s[2:3]
	v_readfirstlane_b32 s4, v6
	v_readfirstlane_b32 s5, v7
	s_mov_b64 s[6:7], exec
	s_waitcnt vmcnt(1)
	v_readfirstlane_b32 s10, v10
	v_readfirstlane_b32 s11, v11
	s_and_b64 s[10:11], s[4:5], s[10:11]
	s_mul_i32 s12, s11, 24
	s_mul_hi_u32 s13, s10, 24
	s_add_i32 s13, s13, s12
	s_mul_i32 s12, s10, 24
	s_waitcnt vmcnt(0)
	v_lshl_add_u64 v[6:7], v[0:1], 0, s[12:13]
	s_and_saveexec_b64 s[12:13], s[0:1]
	s_cbranch_execz .LBB3_8
; %bb.7:
	v_mov_b64_e32 v[8:9], s[6:7]
	v_mov_b32_e32 v10, 2
	v_mov_b32_e32 v11, 1
	global_store_dwordx4 v[6:7], v[8:11], off offset:8
.LBB3_8:
	s_or_b64 exec, exec, s[12:13]
	s_lshl_b64 s[6:7], s[10:11], 12
	v_lshl_add_u64 v[8:9], v[2:3], 0, s[6:7]
	s_mov_b32 s12, 0
	v_mov_b32_e32 v33, 0
	v_lshlrev_b32_e32 v32, 6, v38
	v_mov_b32_e32 v10, 33
	v_mov_b32_e32 v12, 1
	;; [unrolled: 1-line block ×4, first 2 shown]
	v_readfirstlane_b32 s6, v8
	v_readfirstlane_b32 s7, v9
	s_mov_b32 s13, s12
	s_mov_b32 s14, s12
	;; [unrolled: 1-line block ×3, first 2 shown]
	s_nop 1
	global_store_dwordx4 v32, v[10:13], s[6:7]
	s_nop 1
	v_mov_b64_e32 v[10:11], s[12:13]
	v_mov_b64_e32 v[12:13], s[14:15]
	global_store_dwordx4 v32, v[10:13], s[6:7] offset:16
	global_store_dwordx4 v32, v[10:13], s[6:7] offset:32
	;; [unrolled: 1-line block ×3, first 2 shown]
	s_and_saveexec_b64 s[6:7], s[0:1]
	s_cbranch_execz .LBB3_16
; %bb.9:
	global_load_dwordx2 v[14:15], v33, s[2:3] offset:32 sc0 sc1
	global_load_dwordx2 v[2:3], v33, s[2:3] offset:40
	v_mov_b32_e32 v12, s4
	v_mov_b32_e32 v13, s5
	s_waitcnt vmcnt(0)
	v_and_b32_e32 v2, s4, v2
	v_and_b32_e32 v3, s5, v3
	v_mul_lo_u32 v3, v3, 24
	v_mul_hi_u32 v10, v2, 24
	v_mul_lo_u32 v2, v2, 24
	v_add_u32_e32 v3, v10, v3
	v_lshl_add_u64 v[10:11], v[0:1], 0, v[2:3]
	global_store_dwordx2 v[10:11], v[14:15], off
	buffer_wbl2 sc0 sc1
	s_waitcnt vmcnt(0)
	global_atomic_cmpswap_x2 v[2:3], v33, v[12:15], s[2:3] offset:32 sc0 sc1
	s_waitcnt vmcnt(0)
	v_cmp_ne_u64_e32 vcc, v[2:3], v[14:15]
	s_and_saveexec_b64 s[10:11], vcc
	s_cbranch_execz .LBB3_12
; %bb.10:
	s_mov_b64 s[12:13], 0
.LBB3_11:                               ; =>This Inner Loop Header: Depth=1
	s_sleep 1
	global_store_dwordx2 v[10:11], v[2:3], off
	v_mov_b32_e32 v0, s4
	v_mov_b32_e32 v1, s5
	buffer_wbl2 sc0 sc1
	s_waitcnt vmcnt(0)
	global_atomic_cmpswap_x2 v[0:1], v33, v[0:3], s[2:3] offset:32 sc0 sc1
	s_waitcnt vmcnt(0)
	v_cmp_eq_u64_e32 vcc, v[0:1], v[2:3]
	s_or_b64 s[12:13], vcc, s[12:13]
	v_mov_b64_e32 v[2:3], v[0:1]
	s_andn2_b64 exec, exec, s[12:13]
	s_cbranch_execnz .LBB3_11
.LBB3_12:
	s_or_b64 exec, exec, s[10:11]
	v_mov_b32_e32 v3, 0
	global_load_dwordx2 v[0:1], v3, s[2:3] offset:16
	s_mov_b64 s[10:11], exec
	v_mbcnt_lo_u32_b32 v2, s10, 0
	v_mbcnt_hi_u32_b32 v2, s11, v2
	v_cmp_eq_u32_e32 vcc, 0, v2
	s_and_saveexec_b64 s[12:13], vcc
	s_cbranch_execz .LBB3_14
; %bb.13:
	s_bcnt1_i32_b64 s10, s[10:11]
	v_mov_b32_e32 v2, s10
	buffer_wbl2 sc0 sc1
	s_waitcnt vmcnt(0)
	global_atomic_add_x2 v[0:1], v[2:3], off offset:8 sc1
.LBB3_14:
	s_or_b64 exec, exec, s[12:13]
	s_waitcnt vmcnt(0)
	global_load_dwordx2 v[2:3], v[0:1], off offset:16
	s_waitcnt vmcnt(0)
	v_cmp_eq_u64_e32 vcc, 0, v[2:3]
	s_cbranch_vccnz .LBB3_16
; %bb.15:
	global_load_dword v0, v[0:1], off offset:24
	v_mov_b32_e32 v1, 0
	buffer_wbl2 sc0 sc1
	s_waitcnt vmcnt(0)
	global_store_dwordx2 v[2:3], v[0:1], off sc0 sc1
	v_and_b32_e32 v0, 0xffffff, v0
	s_nop 0
	v_readfirstlane_b32 m0, v0
	s_sendmsg sendmsg(MSG_INTERRUPT)
.LBB3_16:
	s_or_b64 exec, exec, s[6:7]
	v_lshl_add_u64 v[0:1], v[8:9], 0, v[32:33]
	s_branch .LBB3_20
.LBB3_17:                               ;   in Loop: Header=BB3_20 Depth=1
	s_or_b64 exec, exec, s[6:7]
	v_readfirstlane_b32 s6, v2
	s_cmp_eq_u32 s6, 0
	s_cbranch_scc1 .LBB3_19
; %bb.18:                               ;   in Loop: Header=BB3_20 Depth=1
	s_sleep 1
	s_cbranch_execnz .LBB3_20
	s_branch .LBB3_22
.LBB3_19:
	s_branch .LBB3_22
.LBB3_20:                               ; =>This Inner Loop Header: Depth=1
	v_mov_b32_e32 v2, 1
	s_and_saveexec_b64 s[6:7], s[0:1]
	s_cbranch_execz .LBB3_17
; %bb.21:                               ;   in Loop: Header=BB3_20 Depth=1
	global_load_dword v2, v[6:7], off offset:20 sc0 sc1
	s_waitcnt vmcnt(0)
	buffer_inv sc0 sc1
	v_and_b32_e32 v2, 1, v2
	s_branch .LBB3_17
.LBB3_22:
	global_load_dwordx2 v[6:7], v[0:1], off
	s_and_saveexec_b64 s[6:7], s[0:1]
	s_cbranch_execz .LBB3_25
; %bb.23:
	v_mov_b32_e32 v10, 0
	global_load_dwordx2 v[8:9], v10, s[2:3] offset:40
	global_load_dwordx2 v[12:13], v10, s[2:3] offset:24 sc0 sc1
	global_load_dwordx2 v[14:15], v10, s[2:3]
	s_mov_b64 s[0:1], 0
	s_waitcnt vmcnt(2)
	v_lshl_add_u64 v[0:1], v[8:9], 0, 1
	v_lshl_add_u64 v[16:17], v[0:1], 0, s[4:5]
	v_cmp_eq_u64_e32 vcc, 0, v[16:17]
	s_waitcnt vmcnt(1)
	v_mov_b32_e32 v2, v12
	v_cndmask_b32_e32 v1, v17, v1, vcc
	v_cndmask_b32_e32 v0, v16, v0, vcc
	v_and_b32_e32 v3, v1, v9
	v_and_b32_e32 v8, v0, v8
	v_mul_lo_u32 v3, v3, 24
	v_mul_hi_u32 v9, v8, 24
	v_mul_lo_u32 v8, v8, 24
	v_add_u32_e32 v9, v9, v3
	s_waitcnt vmcnt(0)
	v_lshl_add_u64 v[8:9], v[14:15], 0, v[8:9]
	global_store_dwordx2 v[8:9], v[12:13], off
	v_mov_b32_e32 v3, v13
	buffer_wbl2 sc0 sc1
	s_waitcnt vmcnt(0)
	global_atomic_cmpswap_x2 v[2:3], v10, v[0:3], s[2:3] offset:24 sc0 sc1
	s_waitcnt vmcnt(0)
	v_cmp_ne_u64_e32 vcc, v[2:3], v[12:13]
	s_and_b64 exec, exec, vcc
	s_cbranch_execz .LBB3_25
.LBB3_24:                               ; =>This Inner Loop Header: Depth=1
	s_sleep 1
	global_store_dwordx2 v[8:9], v[2:3], off
	buffer_wbl2 sc0 sc1
	s_waitcnt vmcnt(0)
	global_atomic_cmpswap_x2 v[12:13], v10, v[0:3], s[2:3] offset:24 sc0 sc1
	s_waitcnt vmcnt(0)
	v_cmp_eq_u64_e32 vcc, v[12:13], v[2:3]
	s_or_b64 s[0:1], vcc, s[0:1]
	v_mov_b64_e32 v[2:3], v[12:13]
	s_andn2_b64 exec, exec, s[0:1]
	s_cbranch_execnz .LBB3_24
.LBB3_25:
	s_or_b64 exec, exec, s[6:7]
	v_mov_b32_e32 v1, s33
	s_mov_b64 s[0:1], 0
.LBB3_26:                               ; =>This Inner Loop Header: Depth=1
	scratch_load_ubyte v2, v1, off
	v_add_u32_e32 v0, 1, v1
	v_mov_b32_e32 v1, v0
	s_waitcnt vmcnt(0)
	v_cmp_eq_u16_e32 vcc, 0, v2
	s_or_b64 s[0:1], vcc, s[0:1]
	s_andn2_b64 exec, exec, s[0:1]
	s_cbranch_execnz .LBB3_26
; %bb.27:
	s_or_b64 exec, exec, s[0:1]
	v_mov_b32_e32 v31, s33
	v_cmp_ne_u32_e32 vcc, -1, v31
	s_cbranch_vccz .LBB3_112
; %bb.28:
	v_subrev_u32_e32 v28, s33, v0
	v_ashrrev_i32_e32 v29, 31, v28
	v_and_b32_e32 v30, 2, v6
	v_mov_b32_e32 v33, 0
	v_and_b32_e32 v0, -3, v6
	v_mov_b32_e32 v1, v7
	s_mov_b64 s[4:5], 0
	s_mov_b32 s16, 0
	s_movk_i32 s17, 0xff1f
	v_mov_b32_e32 v10, 2
	v_mov_b32_e32 v11, 1
	s_branch .LBB3_30
.LBB3_29:                               ;   in Loop: Header=BB3_30 Depth=1
	s_or_b64 exec, exec, s[10:11]
	v_sub_co_u32_e32 v28, vcc, v28, v34
	v_add_u32_e32 v31, v31, v34
	s_nop 0
	v_subb_co_u32_e32 v29, vcc, v29, v35, vcc
	v_cmp_eq_u64_e32 vcc, 0, v[28:29]
	s_or_b64 s[4:5], vcc, s[4:5]
	s_andn2_b64 exec, exec, s[4:5]
	s_cbranch_execz .LBB3_113
.LBB3_30:                               ; =>This Loop Header: Depth=1
                                        ;     Child Loop BB3_33 Depth 2
                                        ;     Child Loop BB3_41 Depth 2
	;; [unrolled: 1-line block ×11, first 2 shown]
	v_cmp_gt_u64_e32 vcc, 56, v[28:29]
                                        ; implicit-def: $vgpr2_vgpr3
                                        ; implicit-def: $sgpr6
	s_nop 1
	v_cndmask_b32_e32 v35, 0, v29, vcc
	v_cndmask_b32_e32 v34, 56, v28, vcc
	v_cmp_gt_u64_e32 vcc, 8, v[28:29]
	s_and_saveexec_b64 s[0:1], vcc
	s_xor_b64 s[0:1], exec, s[0:1]
	s_cbranch_execz .LBB3_36
; %bb.31:                               ;   in Loop: Header=BB3_30 Depth=1
	s_mov_b64 s[10:11], 0
	v_cmp_ne_u64_e32 vcc, 0, v[28:29]
	s_waitcnt vmcnt(0)
	v_mov_b64_e32 v[2:3], 0
	s_and_saveexec_b64 s[6:7], vcc
	s_cbranch_execz .LBB3_35
; %bb.32:                               ;   in Loop: Header=BB3_30 Depth=1
	v_lshlrev_b64 v[8:9], 3, v[34:35]
	v_mov_b64_e32 v[2:3], 0
	s_mov_b64 s[12:13], 0
	v_mov_b32_e32 v9, v31
.LBB3_33:                               ;   Parent Loop BB3_30 Depth=1
                                        ; =>  This Inner Loop Header: Depth=2
	scratch_load_ubyte v12, v9, off
	v_mov_b32_e32 v13, s16
	v_add_u32_e32 v9, 1, v9
	s_waitcnt vmcnt(0)
	v_and_b32_e32 v12, 0xffff, v12
	v_lshlrev_b64 v[12:13], s12, v[12:13]
	s_add_u32 s12, s12, 8
	s_addc_u32 s13, s13, 0
	v_cmp_eq_u32_e32 vcc, s12, v8
	v_or_b32_e32 v3, v13, v3
	s_or_b64 s[10:11], vcc, s[10:11]
	v_or_b32_e32 v2, v12, v2
	s_andn2_b64 exec, exec, s[10:11]
	s_cbranch_execnz .LBB3_33
; %bb.34:                               ;   in Loop: Header=BB3_30 Depth=1
	s_or_b64 exec, exec, s[10:11]
.LBB3_35:                               ;   in Loop: Header=BB3_30 Depth=1
	s_or_b64 exec, exec, s[6:7]
	s_mov_b32 s6, 0
.LBB3_36:                               ;   in Loop: Header=BB3_30 Depth=1
	s_or_saveexec_b64 s[0:1], s[0:1]
	v_mov_b32_e32 v9, s6
	v_mov_b32_e32 v8, v31
	s_xor_b64 exec, exec, s[0:1]
	s_cbranch_execz .LBB3_38
; %bb.37:                               ;   in Loop: Header=BB3_30 Depth=1
	scratch_load_dwordx2 v[2:3], v31, off
	v_add_u32_e32 v9, -8, v34
	s_waitcnt vmcnt(0)
	v_and_b32_e32 v8, 0xff, v3
	v_and_b32_e32 v12, 0xff00, v3
	;; [unrolled: 1-line block ×4, first 2 shown]
	v_or_b32_e32 v8, v8, v12
	v_or3_b32 v2, v2, 0, 0
	v_or3_b32 v3, v8, v13, v3
	v_add_u32_e32 v8, 8, v31
.LBB3_38:                               ;   in Loop: Header=BB3_30 Depth=1
	s_or_b64 exec, exec, s[0:1]
	v_cmp_gt_u32_e32 vcc, 8, v9
                                        ; implicit-def: $vgpr12_vgpr13
                                        ; implicit-def: $sgpr6
	s_and_saveexec_b64 s[0:1], vcc
	s_xor_b64 s[0:1], exec, s[0:1]
	s_cbranch_execz .LBB3_44
; %bb.39:                               ;   in Loop: Header=BB3_30 Depth=1
	v_cmp_ne_u32_e32 vcc, 0, v9
	v_mov_b64_e32 v[12:13], 0
	s_and_saveexec_b64 s[6:7], vcc
	s_cbranch_execz .LBB3_43
; %bb.40:                               ;   in Loop: Header=BB3_30 Depth=1
	s_mov_b32 s14, 0
	s_mov_b64 s[10:11], 0
	v_mov_b64_e32 v[12:13], 0
	s_mov_b64 s[12:13], 0
.LBB3_41:                               ;   Parent Loop BB3_30 Depth=1
                                        ; =>  This Inner Loop Header: Depth=2
	v_add_u32_e32 v14, s14, v8
	scratch_load_ubyte v14, v14, off
	v_mov_b32_e32 v15, s16
	s_add_i32 s14, s14, 1
	v_cmp_eq_u32_e32 vcc, s14, v9
	s_waitcnt vmcnt(0)
	v_and_b32_e32 v14, 0xffff, v14
	v_lshlrev_b64 v[14:15], s12, v[14:15]
	s_add_u32 s12, s12, 8
	s_addc_u32 s13, s13, 0
	v_or_b32_e32 v13, v15, v13
	s_or_b64 s[10:11], vcc, s[10:11]
	v_or_b32_e32 v12, v14, v12
	s_andn2_b64 exec, exec, s[10:11]
	s_cbranch_execnz .LBB3_41
; %bb.42:                               ;   in Loop: Header=BB3_30 Depth=1
	s_or_b64 exec, exec, s[10:11]
.LBB3_43:                               ;   in Loop: Header=BB3_30 Depth=1
	s_or_b64 exec, exec, s[6:7]
	s_mov_b32 s6, 0
                                        ; implicit-def: $vgpr9
.LBB3_44:                               ;   in Loop: Header=BB3_30 Depth=1
	s_or_saveexec_b64 s[0:1], s[0:1]
	v_mov_b32_e32 v16, s6
	s_xor_b64 exec, exec, s[0:1]
	s_cbranch_execz .LBB3_46
; %bb.45:                               ;   in Loop: Header=BB3_30 Depth=1
	scratch_load_dwordx2 v[12:13], v8, off
	v_add_u32_e32 v16, -8, v9
	v_add_u32_e32 v8, 8, v8
	s_waitcnt vmcnt(0)
	v_and_b32_e32 v9, 0xff, v13
	v_and_b32_e32 v14, 0xff00, v13
	v_and_b32_e32 v15, 0xff0000, v13
	v_and_b32_e32 v13, 0xff000000, v13
	v_or_b32_e32 v9, v9, v14
	v_or3_b32 v12, v12, 0, 0
	v_or3_b32 v13, v9, v15, v13
.LBB3_46:                               ;   in Loop: Header=BB3_30 Depth=1
	s_or_b64 exec, exec, s[0:1]
	v_cmp_gt_u32_e32 vcc, 8, v16
                                        ; implicit-def: $sgpr6
	s_and_saveexec_b64 s[0:1], vcc
	s_xor_b64 s[0:1], exec, s[0:1]
	s_cbranch_execz .LBB3_52
; %bb.47:                               ;   in Loop: Header=BB3_30 Depth=1
	v_cmp_ne_u32_e32 vcc, 0, v16
	v_mov_b64_e32 v[14:15], 0
	s_and_saveexec_b64 s[6:7], vcc
	s_cbranch_execz .LBB3_51
; %bb.48:                               ;   in Loop: Header=BB3_30 Depth=1
	s_mov_b32 s14, 0
	s_mov_b64 s[10:11], 0
	v_mov_b64_e32 v[14:15], 0
	s_mov_b64 s[12:13], 0
.LBB3_49:                               ;   Parent Loop BB3_30 Depth=1
                                        ; =>  This Inner Loop Header: Depth=2
	v_add_u32_e32 v9, s14, v8
	scratch_load_ubyte v9, v9, off
	v_mov_b32_e32 v19, s16
	s_add_i32 s14, s14, 1
	v_cmp_eq_u32_e32 vcc, s14, v16
	s_waitcnt vmcnt(0)
	v_and_b32_e32 v18, 0xffff, v9
	v_lshlrev_b64 v[18:19], s12, v[18:19]
	s_add_u32 s12, s12, 8
	s_addc_u32 s13, s13, 0
	v_or_b32_e32 v15, v19, v15
	s_or_b64 s[10:11], vcc, s[10:11]
	v_or_b32_e32 v14, v18, v14
	s_andn2_b64 exec, exec, s[10:11]
	s_cbranch_execnz .LBB3_49
; %bb.50:                               ;   in Loop: Header=BB3_30 Depth=1
	s_or_b64 exec, exec, s[10:11]
.LBB3_51:                               ;   in Loop: Header=BB3_30 Depth=1
	s_or_b64 exec, exec, s[6:7]
	s_mov_b32 s6, 0
                                        ; implicit-def: $vgpr16
.LBB3_52:                               ;   in Loop: Header=BB3_30 Depth=1
	s_or_saveexec_b64 s[0:1], s[0:1]
	v_mov_b32_e32 v9, s6
	s_xor_b64 exec, exec, s[0:1]
	s_cbranch_execz .LBB3_54
; %bb.53:                               ;   in Loop: Header=BB3_30 Depth=1
	scratch_load_dwordx2 v[14:15], v8, off
	v_add_u32_e32 v9, -8, v16
	v_add_u32_e32 v8, 8, v8
	s_waitcnt vmcnt(0)
	v_and_b32_e32 v16, 0xff, v15
	v_and_b32_e32 v17, 0xff00, v15
	;; [unrolled: 1-line block ×4, first 2 shown]
	v_or_b32_e32 v16, v16, v17
	v_or3_b32 v14, v14, 0, 0
	v_or3_b32 v15, v16, v18, v15
.LBB3_54:                               ;   in Loop: Header=BB3_30 Depth=1
	s_or_b64 exec, exec, s[0:1]
	v_cmp_gt_u32_e32 vcc, 8, v9
                                        ; implicit-def: $vgpr16_vgpr17
                                        ; implicit-def: $sgpr6
	s_and_saveexec_b64 s[0:1], vcc
	s_xor_b64 s[0:1], exec, s[0:1]
	s_cbranch_execz .LBB3_60
; %bb.55:                               ;   in Loop: Header=BB3_30 Depth=1
	v_cmp_ne_u32_e32 vcc, 0, v9
	v_mov_b64_e32 v[16:17], 0
	s_and_saveexec_b64 s[6:7], vcc
	s_cbranch_execz .LBB3_59
; %bb.56:                               ;   in Loop: Header=BB3_30 Depth=1
	s_mov_b32 s14, 0
	s_mov_b64 s[10:11], 0
	v_mov_b64_e32 v[16:17], 0
	s_mov_b64 s[12:13], 0
.LBB3_57:                               ;   Parent Loop BB3_30 Depth=1
                                        ; =>  This Inner Loop Header: Depth=2
	v_add_u32_e32 v18, s14, v8
	scratch_load_ubyte v18, v18, off
	v_mov_b32_e32 v19, s16
	s_add_i32 s14, s14, 1
	v_cmp_eq_u32_e32 vcc, s14, v9
	s_waitcnt vmcnt(0)
	v_and_b32_e32 v18, 0xffff, v18
	v_lshlrev_b64 v[18:19], s12, v[18:19]
	s_add_u32 s12, s12, 8
	s_addc_u32 s13, s13, 0
	v_or_b32_e32 v17, v19, v17
	s_or_b64 s[10:11], vcc, s[10:11]
	v_or_b32_e32 v16, v18, v16
	s_andn2_b64 exec, exec, s[10:11]
	s_cbranch_execnz .LBB3_57
; %bb.58:                               ;   in Loop: Header=BB3_30 Depth=1
	s_or_b64 exec, exec, s[10:11]
.LBB3_59:                               ;   in Loop: Header=BB3_30 Depth=1
	s_or_b64 exec, exec, s[6:7]
	s_mov_b32 s6, 0
                                        ; implicit-def: $vgpr9
.LBB3_60:                               ;   in Loop: Header=BB3_30 Depth=1
	s_or_saveexec_b64 s[0:1], s[0:1]
	v_mov_b32_e32 v20, s6
	s_xor_b64 exec, exec, s[0:1]
	s_cbranch_execz .LBB3_62
; %bb.61:                               ;   in Loop: Header=BB3_30 Depth=1
	scratch_load_dwordx2 v[16:17], v8, off
	v_add_u32_e32 v20, -8, v9
	v_add_u32_e32 v8, 8, v8
	s_waitcnt vmcnt(0)
	v_and_b32_e32 v9, 0xff, v17
	v_and_b32_e32 v18, 0xff00, v17
	;; [unrolled: 1-line block ×4, first 2 shown]
	v_or_b32_e32 v9, v9, v18
	v_or3_b32 v16, v16, 0, 0
	v_or3_b32 v17, v9, v19, v17
.LBB3_62:                               ;   in Loop: Header=BB3_30 Depth=1
	s_or_b64 exec, exec, s[0:1]
	v_cmp_gt_u32_e32 vcc, 8, v20
                                        ; implicit-def: $sgpr6
	s_and_saveexec_b64 s[0:1], vcc
	s_xor_b64 s[0:1], exec, s[0:1]
	s_cbranch_execz .LBB3_68
; %bb.63:                               ;   in Loop: Header=BB3_30 Depth=1
	v_cmp_ne_u32_e32 vcc, 0, v20
	v_mov_b64_e32 v[18:19], 0
	s_and_saveexec_b64 s[6:7], vcc
	s_cbranch_execz .LBB3_67
; %bb.64:                               ;   in Loop: Header=BB3_30 Depth=1
	s_mov_b32 s14, 0
	s_mov_b64 s[10:11], 0
	v_mov_b64_e32 v[18:19], 0
	s_mov_b64 s[12:13], 0
.LBB3_65:                               ;   Parent Loop BB3_30 Depth=1
                                        ; =>  This Inner Loop Header: Depth=2
	v_add_u32_e32 v9, s14, v8
	scratch_load_ubyte v9, v9, off
	v_mov_b32_e32 v23, s16
	s_add_i32 s14, s14, 1
	v_cmp_eq_u32_e32 vcc, s14, v20
	s_waitcnt vmcnt(0)
	v_and_b32_e32 v22, 0xffff, v9
	v_lshlrev_b64 v[22:23], s12, v[22:23]
	s_add_u32 s12, s12, 8
	s_addc_u32 s13, s13, 0
	v_or_b32_e32 v19, v23, v19
	s_or_b64 s[10:11], vcc, s[10:11]
	v_or_b32_e32 v18, v22, v18
	s_andn2_b64 exec, exec, s[10:11]
	s_cbranch_execnz .LBB3_65
; %bb.66:                               ;   in Loop: Header=BB3_30 Depth=1
	s_or_b64 exec, exec, s[10:11]
.LBB3_67:                               ;   in Loop: Header=BB3_30 Depth=1
	s_or_b64 exec, exec, s[6:7]
	s_mov_b32 s6, 0
                                        ; implicit-def: $vgpr20
.LBB3_68:                               ;   in Loop: Header=BB3_30 Depth=1
	s_or_saveexec_b64 s[0:1], s[0:1]
	v_mov_b32_e32 v9, s6
	s_xor_b64 exec, exec, s[0:1]
	s_cbranch_execz .LBB3_70
; %bb.69:                               ;   in Loop: Header=BB3_30 Depth=1
	scratch_load_dwordx2 v[18:19], v8, off
	v_add_u32_e32 v9, -8, v20
	v_add_u32_e32 v8, 8, v8
	s_waitcnt vmcnt(0)
	v_and_b32_e32 v20, 0xff, v19
	v_and_b32_e32 v21, 0xff00, v19
	;; [unrolled: 1-line block ×4, first 2 shown]
	v_or_b32_e32 v20, v20, v21
	v_or3_b32 v18, v18, 0, 0
	v_or3_b32 v19, v20, v22, v19
.LBB3_70:                               ;   in Loop: Header=BB3_30 Depth=1
	s_or_b64 exec, exec, s[0:1]
	v_cmp_gt_u32_e32 vcc, 8, v9
                                        ; implicit-def: $vgpr20_vgpr21
                                        ; implicit-def: $sgpr6
	s_and_saveexec_b64 s[0:1], vcc
	s_xor_b64 s[0:1], exec, s[0:1]
	s_cbranch_execz .LBB3_76
; %bb.71:                               ;   in Loop: Header=BB3_30 Depth=1
	v_cmp_ne_u32_e32 vcc, 0, v9
	v_mov_b64_e32 v[20:21], 0
	s_and_saveexec_b64 s[6:7], vcc
	s_cbranch_execz .LBB3_75
; %bb.72:                               ;   in Loop: Header=BB3_30 Depth=1
	s_mov_b32 s14, 0
	s_mov_b64 s[10:11], 0
	v_mov_b64_e32 v[20:21], 0
	s_mov_b64 s[12:13], 0
.LBB3_73:                               ;   Parent Loop BB3_30 Depth=1
                                        ; =>  This Inner Loop Header: Depth=2
	v_add_u32_e32 v22, s14, v8
	scratch_load_ubyte v22, v22, off
	v_mov_b32_e32 v23, s16
	s_add_i32 s14, s14, 1
	v_cmp_eq_u32_e32 vcc, s14, v9
	s_waitcnt vmcnt(0)
	v_and_b32_e32 v22, 0xffff, v22
	v_lshlrev_b64 v[22:23], s12, v[22:23]
	s_add_u32 s12, s12, 8
	s_addc_u32 s13, s13, 0
	v_or_b32_e32 v21, v23, v21
	s_or_b64 s[10:11], vcc, s[10:11]
	v_or_b32_e32 v20, v22, v20
	s_andn2_b64 exec, exec, s[10:11]
	s_cbranch_execnz .LBB3_73
; %bb.74:                               ;   in Loop: Header=BB3_30 Depth=1
	s_or_b64 exec, exec, s[10:11]
.LBB3_75:                               ;   in Loop: Header=BB3_30 Depth=1
	s_or_b64 exec, exec, s[6:7]
	s_mov_b32 s6, 0
                                        ; implicit-def: $vgpr9
.LBB3_76:                               ;   in Loop: Header=BB3_30 Depth=1
	s_or_saveexec_b64 s[0:1], s[0:1]
	v_mov_b32_e32 v24, s6
	s_xor_b64 exec, exec, s[0:1]
	s_cbranch_execz .LBB3_78
; %bb.77:                               ;   in Loop: Header=BB3_30 Depth=1
	scratch_load_dwordx2 v[20:21], v8, off
	v_add_u32_e32 v24, -8, v9
	v_add_u32_e32 v8, 8, v8
	s_waitcnt vmcnt(0)
	v_and_b32_e32 v9, 0xff, v21
	v_and_b32_e32 v22, 0xff00, v21
	;; [unrolled: 1-line block ×4, first 2 shown]
	v_or_b32_e32 v9, v9, v22
	v_or3_b32 v20, v20, 0, 0
	v_or3_b32 v21, v9, v23, v21
.LBB3_78:                               ;   in Loop: Header=BB3_30 Depth=1
	s_or_b64 exec, exec, s[0:1]
	v_cmp_gt_u32_e32 vcc, 8, v24
	s_and_saveexec_b64 s[0:1], vcc
	s_xor_b64 s[0:1], exec, s[0:1]
	s_cbranch_execz .LBB3_84
; %bb.79:                               ;   in Loop: Header=BB3_30 Depth=1
	v_cmp_ne_u32_e32 vcc, 0, v24
	v_mov_b64_e32 v[22:23], 0
	s_and_saveexec_b64 s[6:7], vcc
	s_cbranch_execz .LBB3_83
; %bb.80:                               ;   in Loop: Header=BB3_30 Depth=1
	s_mov_b64 s[10:11], 0
	v_mov_b64_e32 v[22:23], 0
	s_mov_b64 s[12:13], 0
.LBB3_81:                               ;   Parent Loop BB3_30 Depth=1
                                        ; =>  This Inner Loop Header: Depth=2
	scratch_load_ubyte v9, v8, off
	v_mov_b32_e32 v27, s16
	v_add_u32_e32 v24, -1, v24
	v_cmp_eq_u32_e32 vcc, 0, v24
	v_add_u32_e32 v8, 1, v8
	s_waitcnt vmcnt(0)
	v_and_b32_e32 v26, 0xffff, v9
	v_lshlrev_b64 v[26:27], s12, v[26:27]
	s_add_u32 s12, s12, 8
	s_addc_u32 s13, s13, 0
	v_or_b32_e32 v23, v27, v23
	s_or_b64 s[10:11], vcc, s[10:11]
	v_or_b32_e32 v22, v26, v22
	s_andn2_b64 exec, exec, s[10:11]
	s_cbranch_execnz .LBB3_81
; %bb.82:                               ;   in Loop: Header=BB3_30 Depth=1
	s_or_b64 exec, exec, s[10:11]
.LBB3_83:                               ;   in Loop: Header=BB3_30 Depth=1
	s_or_b64 exec, exec, s[6:7]
                                        ; implicit-def: $vgpr8
.LBB3_84:                               ;   in Loop: Header=BB3_30 Depth=1
	s_andn2_saveexec_b64 s[0:1], s[0:1]
	s_cbranch_execz .LBB3_86
; %bb.85:                               ;   in Loop: Header=BB3_30 Depth=1
	scratch_load_dwordx2 v[8:9], v8, off
	s_waitcnt vmcnt(0)
	v_and_b32_e32 v22, 0xff, v9
	v_and_b32_e32 v23, 0xff00, v9
	;; [unrolled: 1-line block ×4, first 2 shown]
	v_or_b32_e32 v22, v22, v23
	v_or3_b32 v23, v22, v24, v9
	v_or3_b32 v22, v8, 0, 0
.LBB3_86:                               ;   in Loop: Header=BB3_30 Depth=1
	s_or_b64 exec, exec, s[0:1]
	v_readfirstlane_b32 s0, v38
	v_mov_b64_e32 v[8:9], 0
	s_nop 0
	v_cmp_eq_u32_e64 s[0:1], s0, v38
	s_and_saveexec_b64 s[6:7], s[0:1]
	s_cbranch_execz .LBB3_92
; %bb.87:                               ;   in Loop: Header=BB3_30 Depth=1
	global_load_dwordx2 v[26:27], v33, s[2:3] offset:24 sc0 sc1
	s_waitcnt vmcnt(0)
	buffer_inv sc0 sc1
	global_load_dwordx2 v[8:9], v33, s[2:3] offset:40
	global_load_dwordx2 v[24:25], v33, s[2:3]
	s_waitcnt vmcnt(1)
	v_and_b32_e32 v8, v8, v26
	v_and_b32_e32 v9, v9, v27
	v_mul_lo_u32 v9, v9, 24
	v_mul_hi_u32 v36, v8, 24
	v_add_u32_e32 v9, v36, v9
	v_mul_lo_u32 v8, v8, 24
	s_waitcnt vmcnt(0)
	v_lshl_add_u64 v[8:9], v[24:25], 0, v[8:9]
	global_load_dwordx2 v[24:25], v[8:9], off sc0 sc1
	s_waitcnt vmcnt(0)
	global_atomic_cmpswap_x2 v[8:9], v33, v[24:27], s[2:3] offset:24 sc0 sc1
	s_waitcnt vmcnt(0)
	buffer_inv sc0 sc1
	v_cmp_ne_u64_e32 vcc, v[8:9], v[26:27]
	s_and_saveexec_b64 s[10:11], vcc
	s_cbranch_execz .LBB3_91
; %bb.88:                               ;   in Loop: Header=BB3_30 Depth=1
	s_mov_b64 s[12:13], 0
.LBB3_89:                               ;   Parent Loop BB3_30 Depth=1
                                        ; =>  This Inner Loop Header: Depth=2
	s_sleep 1
	global_load_dwordx2 v[24:25], v33, s[2:3] offset:40
	global_load_dwordx2 v[36:37], v33, s[2:3]
	v_mov_b64_e32 v[26:27], v[8:9]
	s_waitcnt vmcnt(1)
	v_and_b32_e32 v8, v24, v26
	s_waitcnt vmcnt(0)
	v_mad_u64_u32 v[8:9], s[14:15], v8, 24, v[36:37]
	v_and_b32_e32 v25, v25, v27
	v_mov_b32_e32 v24, v9
	v_mad_u64_u32 v[24:25], s[14:15], v25, 24, v[24:25]
	v_mov_b32_e32 v9, v24
	global_load_dwordx2 v[24:25], v[8:9], off sc0 sc1
	s_waitcnt vmcnt(0)
	global_atomic_cmpswap_x2 v[8:9], v33, v[24:27], s[2:3] offset:24 sc0 sc1
	s_waitcnt vmcnt(0)
	buffer_inv sc0 sc1
	v_cmp_eq_u64_e32 vcc, v[8:9], v[26:27]
	s_or_b64 s[12:13], vcc, s[12:13]
	s_andn2_b64 exec, exec, s[12:13]
	s_cbranch_execnz .LBB3_89
; %bb.90:                               ;   in Loop: Header=BB3_30 Depth=1
	s_or_b64 exec, exec, s[12:13]
.LBB3_91:                               ;   in Loop: Header=BB3_30 Depth=1
	s_or_b64 exec, exec, s[10:11]
.LBB3_92:                               ;   in Loop: Header=BB3_30 Depth=1
	s_or_b64 exec, exec, s[6:7]
	global_load_dwordx2 v[36:37], v33, s[2:3] offset:40
	global_load_dwordx4 v[24:27], v33, s[2:3]
	v_readfirstlane_b32 s6, v8
	v_readfirstlane_b32 s7, v9
	s_mov_b64 s[10:11], exec
	s_waitcnt vmcnt(1)
	v_readfirstlane_b32 s12, v36
	v_readfirstlane_b32 s13, v37
	s_and_b64 s[12:13], s[6:7], s[12:13]
	s_mul_i32 s14, s13, 24
	s_mul_hi_u32 s15, s12, 24
	s_add_i32 s15, s15, s14
	s_mul_i32 s14, s12, 24
	s_waitcnt vmcnt(0)
	v_lshl_add_u64 v[36:37], v[24:25], 0, s[14:15]
	s_and_saveexec_b64 s[14:15], s[0:1]
	s_cbranch_execz .LBB3_94
; %bb.93:                               ;   in Loop: Header=BB3_30 Depth=1
	v_mov_b64_e32 v[8:9], s[10:11]
	global_store_dwordx4 v[36:37], v[8:11], off offset:8
.LBB3_94:                               ;   in Loop: Header=BB3_30 Depth=1
	s_or_b64 exec, exec, s[14:15]
	s_lshl_b64 s[10:11], s[12:13], 12
	v_lshl_add_u64 v[8:9], v[26:27], 0, s[10:11]
	v_or_b32_e32 v26, 0, v1
	v_cmp_lt_u64_e32 vcc, 56, v[28:29]
	v_or_b32_e32 v27, v0, v30
	v_readfirstlane_b32 s10, v8
	v_cndmask_b32_e32 v1, v26, v1, vcc
	v_lshl_add_u32 v26, v34, 2, 28
	v_cndmask_b32_e32 v0, v27, v0, vcc
	v_and_b32_e32 v26, 0x1e0, v26
	v_and_or_b32 v0, v0, s17, v26
	v_readfirstlane_b32 s11, v9
	s_nop 4
	global_store_dwordx4 v32, v[0:3], s[10:11]
	global_store_dwordx4 v32, v[12:15], s[10:11] offset:16
	global_store_dwordx4 v32, v[16:19], s[10:11] offset:32
	;; [unrolled: 1-line block ×3, first 2 shown]
	s_and_saveexec_b64 s[10:11], s[0:1]
	s_cbranch_execz .LBB3_102
; %bb.95:                               ;   in Loop: Header=BB3_30 Depth=1
	global_load_dwordx2 v[16:17], v33, s[2:3] offset:32 sc0 sc1
	global_load_dwordx2 v[0:1], v33, s[2:3] offset:40
	v_mov_b32_e32 v14, s6
	v_mov_b32_e32 v15, s7
	s_waitcnt vmcnt(0)
	v_readfirstlane_b32 s12, v0
	v_readfirstlane_b32 s13, v1
	s_and_b64 s[12:13], s[12:13], s[6:7]
	s_mul_i32 s13, s13, 24
	s_mul_hi_u32 s14, s12, 24
	s_mul_i32 s12, s12, 24
	s_add_i32 s13, s14, s13
	v_lshl_add_u64 v[12:13], v[24:25], 0, s[12:13]
	global_store_dwordx2 v[12:13], v[16:17], off
	buffer_wbl2 sc0 sc1
	s_waitcnt vmcnt(0)
	global_atomic_cmpswap_x2 v[2:3], v33, v[14:17], s[2:3] offset:32 sc0 sc1
	s_waitcnt vmcnt(0)
	v_cmp_ne_u64_e32 vcc, v[2:3], v[16:17]
	s_and_saveexec_b64 s[12:13], vcc
	s_cbranch_execz .LBB3_98
; %bb.96:                               ;   in Loop: Header=BB3_30 Depth=1
	s_mov_b64 s[14:15], 0
.LBB3_97:                               ;   Parent Loop BB3_30 Depth=1
                                        ; =>  This Inner Loop Header: Depth=2
	s_sleep 1
	global_store_dwordx2 v[12:13], v[2:3], off
	v_mov_b32_e32 v0, s6
	v_mov_b32_e32 v1, s7
	buffer_wbl2 sc0 sc1
	s_waitcnt vmcnt(0)
	global_atomic_cmpswap_x2 v[0:1], v33, v[0:3], s[2:3] offset:32 sc0 sc1
	s_waitcnt vmcnt(0)
	v_cmp_eq_u64_e32 vcc, v[0:1], v[2:3]
	s_or_b64 s[14:15], vcc, s[14:15]
	v_mov_b64_e32 v[2:3], v[0:1]
	s_andn2_b64 exec, exec, s[14:15]
	s_cbranch_execnz .LBB3_97
.LBB3_98:                               ;   in Loop: Header=BB3_30 Depth=1
	s_or_b64 exec, exec, s[12:13]
	global_load_dwordx2 v[0:1], v33, s[2:3] offset:16
	s_mov_b64 s[14:15], exec
	v_mbcnt_lo_u32_b32 v2, s14, 0
	v_mbcnt_hi_u32_b32 v2, s15, v2
	v_cmp_eq_u32_e32 vcc, 0, v2
	s_and_saveexec_b64 s[12:13], vcc
	s_cbranch_execz .LBB3_100
; %bb.99:                               ;   in Loop: Header=BB3_30 Depth=1
	s_bcnt1_i32_b64 s14, s[14:15]
	v_mov_b32_e32 v2, s14
	v_mov_b32_e32 v3, v33
	buffer_wbl2 sc0 sc1
	s_waitcnt vmcnt(0)
	global_atomic_add_x2 v[0:1], v[2:3], off offset:8 sc1
.LBB3_100:                              ;   in Loop: Header=BB3_30 Depth=1
	s_or_b64 exec, exec, s[12:13]
	s_waitcnt vmcnt(0)
	global_load_dwordx2 v[2:3], v[0:1], off offset:16
	s_waitcnt vmcnt(0)
	v_cmp_eq_u64_e32 vcc, 0, v[2:3]
	s_cbranch_vccnz .LBB3_102
; %bb.101:                              ;   in Loop: Header=BB3_30 Depth=1
	global_load_dword v0, v[0:1], off offset:24
	v_mov_b32_e32 v1, v33
	buffer_wbl2 sc0 sc1
	s_waitcnt vmcnt(0)
	global_store_dwordx2 v[2:3], v[0:1], off sc0 sc1
	v_and_b32_e32 v0, 0xffffff, v0
	s_nop 0
	v_readfirstlane_b32 m0, v0
	s_sendmsg sendmsg(MSG_INTERRUPT)
.LBB3_102:                              ;   in Loop: Header=BB3_30 Depth=1
	s_or_b64 exec, exec, s[10:11]
	v_lshl_add_u64 v[0:1], v[8:9], 0, v[32:33]
	s_branch .LBB3_106
.LBB3_103:                              ;   in Loop: Header=BB3_106 Depth=2
	s_or_b64 exec, exec, s[10:11]
	v_readfirstlane_b32 s10, v2
	s_cmp_eq_u32 s10, 0
	s_cbranch_scc1 .LBB3_105
; %bb.104:                              ;   in Loop: Header=BB3_106 Depth=2
	s_sleep 1
	s_cbranch_execnz .LBB3_106
	s_branch .LBB3_108
.LBB3_105:                              ;   in Loop: Header=BB3_30 Depth=1
	s_branch .LBB3_108
.LBB3_106:                              ;   Parent Loop BB3_30 Depth=1
                                        ; =>  This Inner Loop Header: Depth=2
	v_mov_b32_e32 v2, 1
	s_and_saveexec_b64 s[10:11], s[0:1]
	s_cbranch_execz .LBB3_103
; %bb.107:                              ;   in Loop: Header=BB3_106 Depth=2
	global_load_dword v2, v[36:37], off offset:20 sc0 sc1
	s_waitcnt vmcnt(0)
	buffer_inv sc0 sc1
	v_and_b32_e32 v2, 1, v2
	s_branch .LBB3_103
.LBB3_108:                              ;   in Loop: Header=BB3_30 Depth=1
	global_load_dwordx4 v[0:3], v[0:1], off
	s_and_saveexec_b64 s[10:11], s[0:1]
	s_cbranch_execz .LBB3_29
; %bb.109:                              ;   in Loop: Header=BB3_30 Depth=1
	global_load_dwordx2 v[2:3], v33, s[2:3] offset:40
	global_load_dwordx2 v[8:9], v33, s[2:3] offset:24 sc0 sc1
	global_load_dwordx2 v[16:17], v33, s[2:3]
	s_waitcnt vmcnt(2)
	v_lshl_add_u64 v[12:13], v[2:3], 0, 1
	v_lshl_add_u64 v[18:19], v[12:13], 0, s[6:7]
	v_cmp_eq_u64_e32 vcc, 0, v[18:19]
	s_waitcnt vmcnt(1)
	v_mov_b32_e32 v14, v8
	v_cndmask_b32_e32 v13, v19, v13, vcc
	v_cndmask_b32_e32 v12, v18, v12, vcc
	v_and_b32_e32 v3, v13, v3
	v_and_b32_e32 v2, v12, v2
	v_mul_lo_u32 v3, v3, 24
	v_mul_hi_u32 v15, v2, 24
	v_mul_lo_u32 v2, v2, 24
	v_add_u32_e32 v3, v15, v3
	s_waitcnt vmcnt(0)
	v_lshl_add_u64 v[2:3], v[16:17], 0, v[2:3]
	global_store_dwordx2 v[2:3], v[8:9], off
	v_mov_b32_e32 v15, v9
	buffer_wbl2 sc0 sc1
	s_waitcnt vmcnt(0)
	global_atomic_cmpswap_x2 v[14:15], v33, v[12:15], s[2:3] offset:24 sc0 sc1
	s_waitcnt vmcnt(0)
	v_cmp_ne_u64_e32 vcc, v[14:15], v[8:9]
	s_and_b64 exec, exec, vcc
	s_cbranch_execz .LBB3_29
; %bb.110:                              ;   in Loop: Header=BB3_30 Depth=1
	s_mov_b64 s[0:1], 0
.LBB3_111:                              ;   Parent Loop BB3_30 Depth=1
                                        ; =>  This Inner Loop Header: Depth=2
	s_sleep 1
	global_store_dwordx2 v[2:3], v[14:15], off
	buffer_wbl2 sc0 sc1
	s_waitcnt vmcnt(0)
	global_atomic_cmpswap_x2 v[8:9], v33, v[12:15], s[2:3] offset:24 sc0 sc1
	s_waitcnt vmcnt(0)
	v_cmp_eq_u64_e32 vcc, v[8:9], v[14:15]
	s_or_b64 s[0:1], vcc, s[0:1]
	v_mov_b64_e32 v[14:15], v[8:9]
	s_andn2_b64 exec, exec, s[0:1]
	s_cbranch_execnz .LBB3_111
	s_branch .LBB3_29
.LBB3_112:
                                        ; implicit-def: $vgpr0_vgpr1
	s_cbranch_execnz .LBB3_114
	s_branch .LBB3_140
.LBB3_113:
	s_or_b64 exec, exec, s[4:5]
	s_branch .LBB3_140
.LBB3_114:
	v_readfirstlane_b32 s0, v38
	v_mov_b64_e32 v[8:9], 0
	s_nop 0
	v_cmp_eq_u32_e64 s[0:1], s0, v38
	s_and_saveexec_b64 s[4:5], s[0:1]
	s_cbranch_execz .LBB3_120
; %bb.115:
	s_waitcnt vmcnt(0)
	v_mov_b32_e32 v0, 0
	global_load_dwordx2 v[10:11], v0, s[2:3] offset:24 sc0 sc1
	s_waitcnt vmcnt(0)
	buffer_inv sc0 sc1
	global_load_dwordx2 v[2:3], v0, s[2:3] offset:40
	global_load_dwordx2 v[8:9], v0, s[2:3]
	s_waitcnt vmcnt(1)
	v_and_b32_e32 v1, v2, v10
	v_and_b32_e32 v2, v3, v11
	v_mul_lo_u32 v2, v2, 24
	v_mul_hi_u32 v3, v1, 24
	v_add_u32_e32 v3, v3, v2
	v_mul_lo_u32 v2, v1, 24
	s_waitcnt vmcnt(0)
	v_lshl_add_u64 v[2:3], v[8:9], 0, v[2:3]
	global_load_dwordx2 v[8:9], v[2:3], off sc0 sc1
	s_waitcnt vmcnt(0)
	global_atomic_cmpswap_x2 v[8:9], v0, v[8:11], s[2:3] offset:24 sc0 sc1
	s_waitcnt vmcnt(0)
	buffer_inv sc0 sc1
	v_cmp_ne_u64_e32 vcc, v[8:9], v[10:11]
	s_and_saveexec_b64 s[6:7], vcc
	s_cbranch_execz .LBB3_119
; %bb.116:
	s_mov_b64 s[10:11], 0
.LBB3_117:                              ; =>This Inner Loop Header: Depth=1
	s_sleep 1
	global_load_dwordx2 v[2:3], v0, s[2:3] offset:40
	global_load_dwordx2 v[12:13], v0, s[2:3]
	v_mov_b64_e32 v[10:11], v[8:9]
	s_waitcnt vmcnt(1)
	v_and_b32_e32 v2, v2, v10
	v_and_b32_e32 v1, v3, v11
	s_waitcnt vmcnt(0)
	v_mad_u64_u32 v[2:3], s[12:13], v2, 24, v[12:13]
	v_mov_b32_e32 v8, v3
	v_mad_u64_u32 v[8:9], s[12:13], v1, 24, v[8:9]
	v_mov_b32_e32 v3, v8
	global_load_dwordx2 v[8:9], v[2:3], off sc0 sc1
	s_waitcnt vmcnt(0)
	global_atomic_cmpswap_x2 v[8:9], v0, v[8:11], s[2:3] offset:24 sc0 sc1
	s_waitcnt vmcnt(0)
	buffer_inv sc0 sc1
	v_cmp_eq_u64_e32 vcc, v[8:9], v[10:11]
	s_or_b64 s[10:11], vcc, s[10:11]
	s_andn2_b64 exec, exec, s[10:11]
	s_cbranch_execnz .LBB3_117
; %bb.118:
	s_or_b64 exec, exec, s[10:11]
.LBB3_119:
	s_or_b64 exec, exec, s[6:7]
.LBB3_120:
	s_or_b64 exec, exec, s[4:5]
	v_mov_b32_e32 v33, 0
	global_load_dwordx2 v[10:11], v33, s[2:3] offset:40
	global_load_dwordx4 v[0:3], v33, s[2:3]
	v_readfirstlane_b32 s4, v8
	v_readfirstlane_b32 s5, v9
	s_mov_b64 s[6:7], exec
	s_waitcnt vmcnt(1)
	v_readfirstlane_b32 s10, v10
	v_readfirstlane_b32 s11, v11
	s_and_b64 s[10:11], s[4:5], s[10:11]
	s_mul_i32 s12, s11, 24
	s_mul_hi_u32 s13, s10, 24
	s_add_i32 s13, s13, s12
	s_mul_i32 s12, s10, 24
	s_waitcnt vmcnt(0)
	v_lshl_add_u64 v[10:11], v[0:1], 0, s[12:13]
	s_and_saveexec_b64 s[12:13], s[0:1]
	s_cbranch_execz .LBB3_122
; %bb.121:
	v_mov_b64_e32 v[12:13], s[6:7]
	v_mov_b32_e32 v14, 2
	v_mov_b32_e32 v15, 1
	global_store_dwordx4 v[10:11], v[12:15], off offset:8
.LBB3_122:
	s_or_b64 exec, exec, s[12:13]
	s_lshl_b64 s[6:7], s[10:11], 12
	v_lshl_add_u64 v[12:13], v[2:3], 0, s[6:7]
	s_movk_i32 s6, 0xff1f
	s_mov_b32 s12, 0
	v_and_or_b32 v6, v6, s6, 32
	v_mov_b32_e32 v8, v33
	v_mov_b32_e32 v9, v33
	v_readfirstlane_b32 s6, v12
	v_readfirstlane_b32 s7, v13
	s_mov_b32 s13, s12
	s_mov_b32 s14, s12
	;; [unrolled: 1-line block ×3, first 2 shown]
	s_nop 1
	global_store_dwordx4 v32, v[6:9], s[6:7]
	s_nop 1
	v_mov_b64_e32 v[6:7], s[12:13]
	v_mov_b64_e32 v[8:9], s[14:15]
	global_store_dwordx4 v32, v[6:9], s[6:7] offset:16
	global_store_dwordx4 v32, v[6:9], s[6:7] offset:32
	;; [unrolled: 1-line block ×3, first 2 shown]
	s_and_saveexec_b64 s[6:7], s[0:1]
	s_cbranch_execz .LBB3_130
; %bb.123:
	v_mov_b32_e32 v8, 0
	global_load_dwordx2 v[16:17], v8, s[2:3] offset:32 sc0 sc1
	global_load_dwordx2 v[2:3], v8, s[2:3] offset:40
	v_mov_b32_e32 v14, s4
	v_mov_b32_e32 v15, s5
	s_waitcnt vmcnt(0)
	v_readfirstlane_b32 s10, v2
	v_readfirstlane_b32 s11, v3
	s_and_b64 s[10:11], s[10:11], s[4:5]
	s_mul_i32 s11, s11, 24
	s_mul_hi_u32 s12, s10, 24
	s_mul_i32 s10, s10, 24
	s_add_i32 s11, s12, s11
	v_lshl_add_u64 v[6:7], v[0:1], 0, s[10:11]
	global_store_dwordx2 v[6:7], v[16:17], off
	buffer_wbl2 sc0 sc1
	s_waitcnt vmcnt(0)
	global_atomic_cmpswap_x2 v[2:3], v8, v[14:17], s[2:3] offset:32 sc0 sc1
	s_waitcnt vmcnt(0)
	v_cmp_ne_u64_e32 vcc, v[2:3], v[16:17]
	s_and_saveexec_b64 s[10:11], vcc
	s_cbranch_execz .LBB3_126
; %bb.124:
	s_mov_b64 s[12:13], 0
.LBB3_125:                              ; =>This Inner Loop Header: Depth=1
	s_sleep 1
	global_store_dwordx2 v[6:7], v[2:3], off
	v_mov_b32_e32 v0, s4
	v_mov_b32_e32 v1, s5
	buffer_wbl2 sc0 sc1
	s_waitcnt vmcnt(0)
	global_atomic_cmpswap_x2 v[0:1], v8, v[0:3], s[2:3] offset:32 sc0 sc1
	s_waitcnt vmcnt(0)
	v_cmp_eq_u64_e32 vcc, v[0:1], v[2:3]
	s_or_b64 s[12:13], vcc, s[12:13]
	v_mov_b64_e32 v[2:3], v[0:1]
	s_andn2_b64 exec, exec, s[12:13]
	s_cbranch_execnz .LBB3_125
.LBB3_126:
	s_or_b64 exec, exec, s[10:11]
	v_mov_b32_e32 v3, 0
	global_load_dwordx2 v[0:1], v3, s[2:3] offset:16
	s_mov_b64 s[10:11], exec
	v_mbcnt_lo_u32_b32 v2, s10, 0
	v_mbcnt_hi_u32_b32 v2, s11, v2
	v_cmp_eq_u32_e32 vcc, 0, v2
	s_and_saveexec_b64 s[12:13], vcc
	s_cbranch_execz .LBB3_128
; %bb.127:
	s_bcnt1_i32_b64 s10, s[10:11]
	v_mov_b32_e32 v2, s10
	buffer_wbl2 sc0 sc1
	s_waitcnt vmcnt(0)
	global_atomic_add_x2 v[0:1], v[2:3], off offset:8 sc1
.LBB3_128:
	s_or_b64 exec, exec, s[12:13]
	s_waitcnt vmcnt(0)
	global_load_dwordx2 v[2:3], v[0:1], off offset:16
	s_waitcnt vmcnt(0)
	v_cmp_eq_u64_e32 vcc, 0, v[2:3]
	s_cbranch_vccnz .LBB3_130
; %bb.129:
	global_load_dword v0, v[0:1], off offset:24
	v_mov_b32_e32 v1, 0
	buffer_wbl2 sc0 sc1
	s_waitcnt vmcnt(0)
	global_store_dwordx2 v[2:3], v[0:1], off sc0 sc1
	v_and_b32_e32 v0, 0xffffff, v0
	s_nop 0
	v_readfirstlane_b32 m0, v0
	s_sendmsg sendmsg(MSG_INTERRUPT)
.LBB3_130:
	s_or_b64 exec, exec, s[6:7]
	v_lshl_add_u64 v[0:1], v[12:13], 0, v[32:33]
	s_branch .LBB3_134
.LBB3_131:                              ;   in Loop: Header=BB3_134 Depth=1
	s_or_b64 exec, exec, s[6:7]
	v_readfirstlane_b32 s6, v2
	s_cmp_eq_u32 s6, 0
	s_cbranch_scc1 .LBB3_133
; %bb.132:                              ;   in Loop: Header=BB3_134 Depth=1
	s_sleep 1
	s_cbranch_execnz .LBB3_134
	s_branch .LBB3_136
.LBB3_133:
	s_branch .LBB3_136
.LBB3_134:                              ; =>This Inner Loop Header: Depth=1
	v_mov_b32_e32 v2, 1
	s_and_saveexec_b64 s[6:7], s[0:1]
	s_cbranch_execz .LBB3_131
; %bb.135:                              ;   in Loop: Header=BB3_134 Depth=1
	global_load_dword v2, v[10:11], off offset:20 sc0 sc1
	s_waitcnt vmcnt(0)
	buffer_inv sc0 sc1
	v_and_b32_e32 v2, 1, v2
	s_branch .LBB3_131
.LBB3_136:
	global_load_dwordx2 v[0:1], v[0:1], off
	s_and_saveexec_b64 s[6:7], s[0:1]
	s_cbranch_execz .LBB3_139
; %bb.137:
	v_mov_b32_e32 v10, 0
	global_load_dwordx2 v[2:3], v10, s[2:3] offset:40
	global_load_dwordx2 v[12:13], v10, s[2:3] offset:24 sc0 sc1
	global_load_dwordx2 v[14:15], v10, s[2:3]
	s_mov_b64 s[0:1], 0
	s_waitcnt vmcnt(2)
	v_lshl_add_u64 v[6:7], v[2:3], 0, 1
	v_lshl_add_u64 v[16:17], v[6:7], 0, s[4:5]
	v_cmp_eq_u64_e32 vcc, 0, v[16:17]
	s_waitcnt vmcnt(1)
	v_mov_b32_e32 v8, v12
	v_cndmask_b32_e32 v7, v17, v7, vcc
	v_cndmask_b32_e32 v6, v16, v6, vcc
	v_and_b32_e32 v3, v7, v3
	v_and_b32_e32 v2, v6, v2
	v_mul_lo_u32 v3, v3, 24
	v_mul_hi_u32 v9, v2, 24
	v_mul_lo_u32 v2, v2, 24
	v_add_u32_e32 v3, v9, v3
	s_waitcnt vmcnt(0)
	v_lshl_add_u64 v[2:3], v[14:15], 0, v[2:3]
	global_store_dwordx2 v[2:3], v[12:13], off
	v_mov_b32_e32 v9, v13
	buffer_wbl2 sc0 sc1
	s_waitcnt vmcnt(0)
	global_atomic_cmpswap_x2 v[8:9], v10, v[6:9], s[2:3] offset:24 sc0 sc1
	s_waitcnt vmcnt(0)
	v_cmp_ne_u64_e32 vcc, v[8:9], v[12:13]
	s_and_b64 exec, exec, vcc
	s_cbranch_execz .LBB3_139
.LBB3_138:                              ; =>This Inner Loop Header: Depth=1
	s_sleep 1
	global_store_dwordx2 v[2:3], v[8:9], off
	buffer_wbl2 sc0 sc1
	s_waitcnt vmcnt(0)
	global_atomic_cmpswap_x2 v[12:13], v10, v[6:9], s[2:3] offset:24 sc0 sc1
	s_waitcnt vmcnt(0)
	v_cmp_eq_u64_e32 vcc, v[12:13], v[8:9]
	s_or_b64 s[0:1], vcc, s[0:1]
	v_mov_b64_e32 v[8:9], v[12:13]
	s_andn2_b64 exec, exec, s[0:1]
	s_cbranch_execnz .LBB3_138
.LBB3_139:
	s_or_b64 exec, exec, s[6:7]
.LBB3_140:
	s_getpc_b64 s[4:5]
	s_add_u32 s4, s4, .str.2@rel32@lo+4
	s_addc_u32 s5, s5, .str.2@rel32@hi+12
	s_cmp_lg_u64 s[4:5], 0
	s_cbranch_scc0 .LBB3_224
; %bb.141:
	s_getpc_b64 s[0:1]
	s_add_u32 s0, s0, .str.2@rel32@lo+80
	s_addc_u32 s1, s1, .str.2@rel32@hi+88
	s_sub_i32 s6, s0, s4
	s_ashr_i32 s7, s6, 31
	s_waitcnt vmcnt(0)
	v_and_b32_e32 v2, 2, v0
	v_mov_b32_e32 v35, 0
	v_and_b32_e32 v6, -3, v0
	v_mov_b32_e32 v7, v1
	v_mov_b32_e32 v10, 2
	v_mov_b32_e32 v11, 1
	s_branch .LBB3_143
.LBB3_142:                              ;   in Loop: Header=BB3_143 Depth=1
	s_or_b64 exec, exec, s[14:15]
	s_sub_u32 s6, s6, s10
	s_subb_u32 s7, s7, s11
	s_add_u32 s4, s4, s10
	s_addc_u32 s5, s5, s11
	s_cmp_lg_u64 s[6:7], 0
	s_cbranch_scc0 .LBB3_225
.LBB3_143:                              ; =>This Loop Header: Depth=1
                                        ;     Child Loop BB3_146 Depth 2
                                        ;     Child Loop BB3_153 Depth 2
	;; [unrolled: 1-line block ×11, first 2 shown]
	v_cmp_lt_u64_e64 s[0:1], s[6:7], 56
	s_and_b64 s[0:1], s[0:1], exec
	v_cmp_gt_u64_e64 s[0:1], s[6:7], 7
	s_cselect_b32 s11, s7, 0
	s_cselect_b32 s10, s6, 56
	s_and_b64 vcc, exec, s[0:1]
	s_cbranch_vccnz .LBB3_148
; %bb.144:                              ;   in Loop: Header=BB3_143 Depth=1
	s_mov_b64 s[0:1], 0
	s_cmp_eq_u64 s[6:7], 0
	v_mov_b64_e32 v[14:15], 0
	s_cbranch_scc1 .LBB3_147
; %bb.145:                              ;   in Loop: Header=BB3_143 Depth=1
	s_lshl_b64 s[12:13], s[10:11], 3
	s_mov_b64 s[14:15], 0
	v_mov_b64_e32 v[14:15], 0
	s_mov_b64 s[16:17], s[4:5]
.LBB3_146:                              ;   Parent Loop BB3_143 Depth=1
                                        ; =>  This Inner Loop Header: Depth=2
	global_load_ubyte v3, v35, s[16:17]
	s_waitcnt vmcnt(0)
	v_and_b32_e32 v34, 0xffff, v3
	v_lshlrev_b64 v[8:9], s14, v[34:35]
	s_add_u32 s14, s14, 8
	s_addc_u32 s15, s15, 0
	s_add_u32 s16, s16, 1
	s_addc_u32 s17, s17, 0
	v_or_b32_e32 v14, v8, v14
	s_cmp_lg_u32 s12, s14
	v_or_b32_e32 v15, v9, v15
	s_cbranch_scc1 .LBB3_146
.LBB3_147:                              ;   in Loop: Header=BB3_143 Depth=1
	s_mov_b32 s16, 0
	s_andn2_b64 vcc, exec, s[0:1]
	s_mov_b64 s[0:1], s[4:5]
	s_cbranch_vccz .LBB3_149
	s_branch .LBB3_150
.LBB3_148:                              ;   in Loop: Header=BB3_143 Depth=1
                                        ; implicit-def: $vgpr14_vgpr15
                                        ; implicit-def: $sgpr16
	s_mov_b64 s[0:1], s[4:5]
.LBB3_149:                              ;   in Loop: Header=BB3_143 Depth=1
	global_load_dwordx2 v[14:15], v35, s[4:5]
	s_add_i32 s16, s10, -8
	s_add_u32 s0, s4, 8
	s_addc_u32 s1, s5, 0
.LBB3_150:                              ;   in Loop: Header=BB3_143 Depth=1
	s_cmp_gt_u32 s16, 7
	s_cbranch_scc1 .LBB3_154
; %bb.151:                              ;   in Loop: Header=BB3_143 Depth=1
	s_cmp_eq_u32 s16, 0
	s_cbranch_scc1 .LBB3_155
; %bb.152:                              ;   in Loop: Header=BB3_143 Depth=1
	s_mov_b64 s[12:13], 0
	v_mov_b64_e32 v[16:17], 0
	s_mov_b64 s[14:15], 0
.LBB3_153:                              ;   Parent Loop BB3_143 Depth=1
                                        ; =>  This Inner Loop Header: Depth=2
	s_add_u32 s18, s0, s14
	s_addc_u32 s19, s1, s15
	global_load_ubyte v3, v35, s[18:19]
	s_add_u32 s14, s14, 1
	s_addc_u32 s15, s15, 0
	s_waitcnt vmcnt(0)
	v_and_b32_e32 v34, 0xffff, v3
	v_lshlrev_b64 v[8:9], s12, v[34:35]
	s_add_u32 s12, s12, 8
	s_addc_u32 s13, s13, 0
	v_or_b32_e32 v16, v8, v16
	s_cmp_lg_u32 s16, s14
	v_or_b32_e32 v17, v9, v17
	s_cbranch_scc1 .LBB3_153
	s_branch .LBB3_156
.LBB3_154:                              ;   in Loop: Header=BB3_143 Depth=1
                                        ; implicit-def: $vgpr16_vgpr17
                                        ; implicit-def: $sgpr17
	s_branch .LBB3_157
.LBB3_155:                              ;   in Loop: Header=BB3_143 Depth=1
	v_mov_b64_e32 v[16:17], 0
.LBB3_156:                              ;   in Loop: Header=BB3_143 Depth=1
	s_mov_b32 s17, 0
	s_cbranch_execnz .LBB3_158
.LBB3_157:                              ;   in Loop: Header=BB3_143 Depth=1
	global_load_dwordx2 v[16:17], v35, s[0:1]
	s_add_i32 s17, s16, -8
	s_add_u32 s0, s0, 8
	s_addc_u32 s1, s1, 0
.LBB3_158:                              ;   in Loop: Header=BB3_143 Depth=1
	s_cmp_gt_u32 s17, 7
	s_cbranch_scc1 .LBB3_162
; %bb.159:                              ;   in Loop: Header=BB3_143 Depth=1
	s_cmp_eq_u32 s17, 0
	s_cbranch_scc1 .LBB3_163
; %bb.160:                              ;   in Loop: Header=BB3_143 Depth=1
	s_mov_b64 s[12:13], 0
	v_mov_b64_e32 v[18:19], 0
	s_mov_b64 s[14:15], 0
.LBB3_161:                              ;   Parent Loop BB3_143 Depth=1
                                        ; =>  This Inner Loop Header: Depth=2
	s_add_u32 s18, s0, s14
	s_addc_u32 s19, s1, s15
	global_load_ubyte v3, v35, s[18:19]
	s_add_u32 s14, s14, 1
	s_addc_u32 s15, s15, 0
	s_waitcnt vmcnt(0)
	v_and_b32_e32 v34, 0xffff, v3
	v_lshlrev_b64 v[8:9], s12, v[34:35]
	s_add_u32 s12, s12, 8
	s_addc_u32 s13, s13, 0
	v_or_b32_e32 v18, v8, v18
	s_cmp_lg_u32 s17, s14
	v_or_b32_e32 v19, v9, v19
	s_cbranch_scc1 .LBB3_161
	s_branch .LBB3_164
.LBB3_162:                              ;   in Loop: Header=BB3_143 Depth=1
                                        ; implicit-def: $sgpr16
	s_branch .LBB3_165
.LBB3_163:                              ;   in Loop: Header=BB3_143 Depth=1
	v_mov_b64_e32 v[18:19], 0
.LBB3_164:                              ;   in Loop: Header=BB3_143 Depth=1
	s_mov_b32 s16, 0
	s_cbranch_execnz .LBB3_166
.LBB3_165:                              ;   in Loop: Header=BB3_143 Depth=1
	global_load_dwordx2 v[18:19], v35, s[0:1]
	s_add_i32 s16, s17, -8
	s_add_u32 s0, s0, 8
	s_addc_u32 s1, s1, 0
.LBB3_166:                              ;   in Loop: Header=BB3_143 Depth=1
	s_cmp_gt_u32 s16, 7
	s_cbranch_scc1 .LBB3_170
; %bb.167:                              ;   in Loop: Header=BB3_143 Depth=1
	s_cmp_eq_u32 s16, 0
	s_cbranch_scc1 .LBB3_171
; %bb.168:                              ;   in Loop: Header=BB3_143 Depth=1
	s_mov_b64 s[12:13], 0
	v_mov_b64_e32 v[20:21], 0
	s_mov_b64 s[14:15], 0
.LBB3_169:                              ;   Parent Loop BB3_143 Depth=1
                                        ; =>  This Inner Loop Header: Depth=2
	s_add_u32 s18, s0, s14
	s_addc_u32 s19, s1, s15
	global_load_ubyte v3, v35, s[18:19]
	s_add_u32 s14, s14, 1
	s_addc_u32 s15, s15, 0
	s_waitcnt vmcnt(0)
	v_and_b32_e32 v34, 0xffff, v3
	v_lshlrev_b64 v[8:9], s12, v[34:35]
	s_add_u32 s12, s12, 8
	s_addc_u32 s13, s13, 0
	v_or_b32_e32 v20, v8, v20
	s_cmp_lg_u32 s16, s14
	v_or_b32_e32 v21, v9, v21
	s_cbranch_scc1 .LBB3_169
	s_branch .LBB3_172
.LBB3_170:                              ;   in Loop: Header=BB3_143 Depth=1
                                        ; implicit-def: $vgpr20_vgpr21
                                        ; implicit-def: $sgpr17
	s_branch .LBB3_173
.LBB3_171:                              ;   in Loop: Header=BB3_143 Depth=1
	v_mov_b64_e32 v[20:21], 0
.LBB3_172:                              ;   in Loop: Header=BB3_143 Depth=1
	s_mov_b32 s17, 0
	s_cbranch_execnz .LBB3_174
.LBB3_173:                              ;   in Loop: Header=BB3_143 Depth=1
	global_load_dwordx2 v[20:21], v35, s[0:1]
	s_add_i32 s17, s16, -8
	s_add_u32 s0, s0, 8
	s_addc_u32 s1, s1, 0
.LBB3_174:                              ;   in Loop: Header=BB3_143 Depth=1
	s_cmp_gt_u32 s17, 7
	s_cbranch_scc1 .LBB3_178
; %bb.175:                              ;   in Loop: Header=BB3_143 Depth=1
	s_cmp_eq_u32 s17, 0
	s_cbranch_scc1 .LBB3_179
; %bb.176:                              ;   in Loop: Header=BB3_143 Depth=1
	s_mov_b64 s[12:13], 0
	v_mov_b64_e32 v[22:23], 0
	s_mov_b64 s[14:15], 0
.LBB3_177:                              ;   Parent Loop BB3_143 Depth=1
                                        ; =>  This Inner Loop Header: Depth=2
	s_add_u32 s18, s0, s14
	s_addc_u32 s19, s1, s15
	global_load_ubyte v3, v35, s[18:19]
	s_add_u32 s14, s14, 1
	s_addc_u32 s15, s15, 0
	s_waitcnt vmcnt(0)
	v_and_b32_e32 v34, 0xffff, v3
	v_lshlrev_b64 v[8:9], s12, v[34:35]
	s_add_u32 s12, s12, 8
	s_addc_u32 s13, s13, 0
	v_or_b32_e32 v22, v8, v22
	s_cmp_lg_u32 s17, s14
	v_or_b32_e32 v23, v9, v23
	s_cbranch_scc1 .LBB3_177
	s_branch .LBB3_180
.LBB3_178:                              ;   in Loop: Header=BB3_143 Depth=1
                                        ; implicit-def: $sgpr16
	s_branch .LBB3_181
.LBB3_179:                              ;   in Loop: Header=BB3_143 Depth=1
	v_mov_b64_e32 v[22:23], 0
.LBB3_180:                              ;   in Loop: Header=BB3_143 Depth=1
	s_mov_b32 s16, 0
	s_cbranch_execnz .LBB3_182
.LBB3_181:                              ;   in Loop: Header=BB3_143 Depth=1
	global_load_dwordx2 v[22:23], v35, s[0:1]
	s_add_i32 s16, s17, -8
	s_add_u32 s0, s0, 8
	s_addc_u32 s1, s1, 0
.LBB3_182:                              ;   in Loop: Header=BB3_143 Depth=1
	s_cmp_gt_u32 s16, 7
	s_cbranch_scc1 .LBB3_186
; %bb.183:                              ;   in Loop: Header=BB3_143 Depth=1
	s_cmp_eq_u32 s16, 0
	s_cbranch_scc1 .LBB3_187
; %bb.184:                              ;   in Loop: Header=BB3_143 Depth=1
	s_mov_b64 s[12:13], 0
	v_mov_b64_e32 v[24:25], 0
	s_mov_b64 s[14:15], 0
.LBB3_185:                              ;   Parent Loop BB3_143 Depth=1
                                        ; =>  This Inner Loop Header: Depth=2
	s_add_u32 s18, s0, s14
	s_addc_u32 s19, s1, s15
	global_load_ubyte v3, v35, s[18:19]
	s_add_u32 s14, s14, 1
	s_addc_u32 s15, s15, 0
	s_waitcnt vmcnt(0)
	v_and_b32_e32 v34, 0xffff, v3
	v_lshlrev_b64 v[8:9], s12, v[34:35]
	s_add_u32 s12, s12, 8
	s_addc_u32 s13, s13, 0
	v_or_b32_e32 v24, v8, v24
	s_cmp_lg_u32 s16, s14
	v_or_b32_e32 v25, v9, v25
	s_cbranch_scc1 .LBB3_185
	s_branch .LBB3_188
.LBB3_186:                              ;   in Loop: Header=BB3_143 Depth=1
                                        ; implicit-def: $vgpr24_vgpr25
                                        ; implicit-def: $sgpr17
	s_branch .LBB3_189
.LBB3_187:                              ;   in Loop: Header=BB3_143 Depth=1
	v_mov_b64_e32 v[24:25], 0
.LBB3_188:                              ;   in Loop: Header=BB3_143 Depth=1
	s_mov_b32 s17, 0
	s_cbranch_execnz .LBB3_190
.LBB3_189:                              ;   in Loop: Header=BB3_143 Depth=1
	global_load_dwordx2 v[24:25], v35, s[0:1]
	s_add_i32 s17, s16, -8
	s_add_u32 s0, s0, 8
	s_addc_u32 s1, s1, 0
.LBB3_190:                              ;   in Loop: Header=BB3_143 Depth=1
	s_cmp_gt_u32 s17, 7
	s_cbranch_scc1 .LBB3_194
; %bb.191:                              ;   in Loop: Header=BB3_143 Depth=1
	s_cmp_eq_u32 s17, 0
	s_cbranch_scc1 .LBB3_195
; %bb.192:                              ;   in Loop: Header=BB3_143 Depth=1
	s_mov_b64 s[12:13], 0
	v_mov_b64_e32 v[26:27], 0
	s_mov_b64 s[14:15], s[0:1]
.LBB3_193:                              ;   Parent Loop BB3_143 Depth=1
                                        ; =>  This Inner Loop Header: Depth=2
	global_load_ubyte v3, v35, s[14:15]
	s_add_i32 s17, s17, -1
	s_waitcnt vmcnt(0)
	v_and_b32_e32 v34, 0xffff, v3
	v_lshlrev_b64 v[8:9], s12, v[34:35]
	s_add_u32 s12, s12, 8
	s_addc_u32 s13, s13, 0
	s_add_u32 s14, s14, 1
	s_addc_u32 s15, s15, 0
	v_or_b32_e32 v26, v8, v26
	s_cmp_lg_u32 s17, 0
	v_or_b32_e32 v27, v9, v27
	s_cbranch_scc1 .LBB3_193
	s_branch .LBB3_196
.LBB3_194:                              ;   in Loop: Header=BB3_143 Depth=1
	s_branch .LBB3_197
.LBB3_195:                              ;   in Loop: Header=BB3_143 Depth=1
	v_mov_b64_e32 v[26:27], 0
.LBB3_196:                              ;   in Loop: Header=BB3_143 Depth=1
	s_cbranch_execnz .LBB3_198
.LBB3_197:                              ;   in Loop: Header=BB3_143 Depth=1
	global_load_dwordx2 v[26:27], v35, s[0:1]
.LBB3_198:                              ;   in Loop: Header=BB3_143 Depth=1
	v_readfirstlane_b32 s0, v38
	s_waitcnt vmcnt(0)
	v_mov_b64_e32 v[8:9], 0
	v_cmp_eq_u32_e64 s[0:1], s0, v38
	s_and_saveexec_b64 s[12:13], s[0:1]
	s_cbranch_execz .LBB3_204
; %bb.199:                              ;   in Loop: Header=BB3_143 Depth=1
	global_load_dwordx2 v[30:31], v35, s[2:3] offset:24 sc0 sc1
	s_waitcnt vmcnt(0)
	buffer_inv sc0 sc1
	global_load_dwordx2 v[8:9], v35, s[2:3] offset:40
	global_load_dwordx2 v[12:13], v35, s[2:3]
	s_waitcnt vmcnt(1)
	v_and_b32_e32 v3, v8, v30
	v_and_b32_e32 v8, v9, v31
	v_mul_lo_u32 v8, v8, 24
	v_mul_hi_u32 v9, v3, 24
	v_add_u32_e32 v9, v9, v8
	v_mul_lo_u32 v8, v3, 24
	s_waitcnt vmcnt(0)
	v_lshl_add_u64 v[8:9], v[12:13], 0, v[8:9]
	global_load_dwordx2 v[28:29], v[8:9], off sc0 sc1
	s_waitcnt vmcnt(0)
	global_atomic_cmpswap_x2 v[8:9], v35, v[28:31], s[2:3] offset:24 sc0 sc1
	s_waitcnt vmcnt(0)
	buffer_inv sc0 sc1
	v_cmp_ne_u64_e32 vcc, v[8:9], v[30:31]
	s_and_saveexec_b64 s[14:15], vcc
	s_cbranch_execz .LBB3_203
; %bb.200:                              ;   in Loop: Header=BB3_143 Depth=1
	s_mov_b64 s[16:17], 0
.LBB3_201:                              ;   Parent Loop BB3_143 Depth=1
                                        ; =>  This Inner Loop Header: Depth=2
	s_sleep 1
	global_load_dwordx2 v[12:13], v35, s[2:3] offset:40
	global_load_dwordx2 v[28:29], v35, s[2:3]
	v_mov_b64_e32 v[30:31], v[8:9]
	s_waitcnt vmcnt(1)
	v_and_b32_e32 v8, v12, v30
	s_waitcnt vmcnt(0)
	v_mad_u64_u32 v[8:9], s[18:19], v8, 24, v[28:29]
	v_and_b32_e32 v3, v13, v31
	v_mov_b32_e32 v12, v9
	v_mad_u64_u32 v[12:13], s[18:19], v3, 24, v[12:13]
	v_mov_b32_e32 v9, v12
	global_load_dwordx2 v[28:29], v[8:9], off sc0 sc1
	s_waitcnt vmcnt(0)
	global_atomic_cmpswap_x2 v[8:9], v35, v[28:31], s[2:3] offset:24 sc0 sc1
	s_waitcnt vmcnt(0)
	buffer_inv sc0 sc1
	v_cmp_eq_u64_e32 vcc, v[8:9], v[30:31]
	s_or_b64 s[16:17], vcc, s[16:17]
	s_andn2_b64 exec, exec, s[16:17]
	s_cbranch_execnz .LBB3_201
; %bb.202:                              ;   in Loop: Header=BB3_143 Depth=1
	s_or_b64 exec, exec, s[16:17]
.LBB3_203:                              ;   in Loop: Header=BB3_143 Depth=1
	s_or_b64 exec, exec, s[14:15]
.LBB3_204:                              ;   in Loop: Header=BB3_143 Depth=1
	s_or_b64 exec, exec, s[12:13]
	global_load_dwordx2 v[12:13], v35, s[2:3] offset:40
	global_load_dwordx4 v[28:31], v35, s[2:3]
	v_readfirstlane_b32 s12, v8
	v_readfirstlane_b32 s13, v9
	s_mov_b64 s[14:15], exec
	s_waitcnt vmcnt(1)
	v_readfirstlane_b32 s16, v12
	v_readfirstlane_b32 s17, v13
	s_and_b64 s[16:17], s[12:13], s[16:17]
	s_mul_i32 s18, s17, 24
	s_mul_hi_u32 s19, s16, 24
	s_add_i32 s19, s19, s18
	s_mul_i32 s18, s16, 24
	s_waitcnt vmcnt(0)
	v_lshl_add_u64 v[36:37], v[28:29], 0, s[18:19]
	s_and_saveexec_b64 s[18:19], s[0:1]
	s_cbranch_execz .LBB3_206
; %bb.205:                              ;   in Loop: Header=BB3_143 Depth=1
	v_mov_b64_e32 v[8:9], s[14:15]
	global_store_dwordx4 v[36:37], v[8:11], off offset:8
.LBB3_206:                              ;   in Loop: Header=BB3_143 Depth=1
	s_or_b64 exec, exec, s[18:19]
	s_lshl_b64 s[14:15], s[16:17], 12
	v_lshl_add_u64 v[30:31], v[30:31], 0, s[14:15]
	v_or_b32_e32 v3, 0, v7
	v_or_b32_e32 v8, v6, v2
	v_cmp_gt_u64_e64 vcc, s[6:7], 56
	s_lshl_b32 s14, s10, 2
	s_add_i32 s14, s14, 28
	v_cndmask_b32_e32 v13, v3, v7, vcc
	v_cndmask_b32_e32 v3, v8, v6, vcc
	s_and_b32 s14, s14, 0x1e0
	v_and_b32_e32 v3, 0xffffff1f, v3
	v_or_b32_e32 v12, s14, v3
	v_readfirstlane_b32 s14, v30
	v_readfirstlane_b32 s15, v31
	s_nop 4
	global_store_dwordx4 v32, v[12:15], s[14:15]
	global_store_dwordx4 v32, v[16:19], s[14:15] offset:16
	global_store_dwordx4 v32, v[20:23], s[14:15] offset:32
	;; [unrolled: 1-line block ×3, first 2 shown]
	s_and_saveexec_b64 s[14:15], s[0:1]
	s_cbranch_execz .LBB3_214
; %bb.207:                              ;   in Loop: Header=BB3_143 Depth=1
	global_load_dwordx2 v[16:17], v35, s[2:3] offset:32 sc0 sc1
	global_load_dwordx2 v[6:7], v35, s[2:3] offset:40
	v_mov_b32_e32 v14, s12
	v_mov_b32_e32 v15, s13
	s_waitcnt vmcnt(0)
	v_readfirstlane_b32 s16, v6
	v_readfirstlane_b32 s17, v7
	s_and_b64 s[16:17], s[16:17], s[12:13]
	s_mul_i32 s17, s17, 24
	s_mul_hi_u32 s18, s16, 24
	s_mul_i32 s16, s16, 24
	s_add_i32 s17, s18, s17
	v_lshl_add_u64 v[12:13], v[28:29], 0, s[16:17]
	global_store_dwordx2 v[12:13], v[16:17], off
	buffer_wbl2 sc0 sc1
	s_waitcnt vmcnt(0)
	global_atomic_cmpswap_x2 v[8:9], v35, v[14:17], s[2:3] offset:32 sc0 sc1
	s_waitcnt vmcnt(0)
	v_cmp_ne_u64_e32 vcc, v[8:9], v[16:17]
	s_and_saveexec_b64 s[16:17], vcc
	s_cbranch_execz .LBB3_210
; %bb.208:                              ;   in Loop: Header=BB3_143 Depth=1
	s_mov_b64 s[18:19], 0
.LBB3_209:                              ;   Parent Loop BB3_143 Depth=1
                                        ; =>  This Inner Loop Header: Depth=2
	s_sleep 1
	global_store_dwordx2 v[12:13], v[8:9], off
	v_mov_b32_e32 v6, s12
	v_mov_b32_e32 v7, s13
	buffer_wbl2 sc0 sc1
	s_waitcnt vmcnt(0)
	global_atomic_cmpswap_x2 v[6:7], v35, v[6:9], s[2:3] offset:32 sc0 sc1
	s_waitcnt vmcnt(0)
	v_cmp_eq_u64_e32 vcc, v[6:7], v[8:9]
	s_or_b64 s[18:19], vcc, s[18:19]
	v_mov_b64_e32 v[8:9], v[6:7]
	s_andn2_b64 exec, exec, s[18:19]
	s_cbranch_execnz .LBB3_209
.LBB3_210:                              ;   in Loop: Header=BB3_143 Depth=1
	s_or_b64 exec, exec, s[16:17]
	global_load_dwordx2 v[6:7], v35, s[2:3] offset:16
	s_mov_b64 s[18:19], exec
	v_mbcnt_lo_u32_b32 v3, s18, 0
	v_mbcnt_hi_u32_b32 v3, s19, v3
	v_cmp_eq_u32_e32 vcc, 0, v3
	s_and_saveexec_b64 s[16:17], vcc
	s_cbranch_execz .LBB3_212
; %bb.211:                              ;   in Loop: Header=BB3_143 Depth=1
	s_bcnt1_i32_b64 s18, s[18:19]
	v_mov_b32_e32 v34, s18
	buffer_wbl2 sc0 sc1
	s_waitcnt vmcnt(0)
	global_atomic_add_x2 v[6:7], v[34:35], off offset:8 sc1
.LBB3_212:                              ;   in Loop: Header=BB3_143 Depth=1
	s_or_b64 exec, exec, s[16:17]
	s_waitcnt vmcnt(0)
	global_load_dwordx2 v[8:9], v[6:7], off offset:16
	s_waitcnt vmcnt(0)
	v_cmp_eq_u64_e32 vcc, 0, v[8:9]
	s_cbranch_vccnz .LBB3_214
; %bb.213:                              ;   in Loop: Header=BB3_143 Depth=1
	global_load_dword v34, v[6:7], off offset:24
	s_waitcnt vmcnt(0)
	v_and_b32_e32 v3, 0xffffff, v34
	s_nop 0
	v_readfirstlane_b32 m0, v3
	buffer_wbl2 sc0 sc1
	global_store_dwordx2 v[8:9], v[34:35], off sc0 sc1
	s_sendmsg sendmsg(MSG_INTERRUPT)
.LBB3_214:                              ;   in Loop: Header=BB3_143 Depth=1
	s_or_b64 exec, exec, s[14:15]
	v_mov_b32_e32 v33, v35
	v_lshl_add_u64 v[6:7], v[30:31], 0, v[32:33]
	s_branch .LBB3_218
.LBB3_215:                              ;   in Loop: Header=BB3_218 Depth=2
	s_or_b64 exec, exec, s[14:15]
	v_readfirstlane_b32 s14, v3
	s_cmp_eq_u32 s14, 0
	s_cbranch_scc1 .LBB3_217
; %bb.216:                              ;   in Loop: Header=BB3_218 Depth=2
	s_sleep 1
	s_cbranch_execnz .LBB3_218
	s_branch .LBB3_220
.LBB3_217:                              ;   in Loop: Header=BB3_143 Depth=1
	s_branch .LBB3_220
.LBB3_218:                              ;   Parent Loop BB3_143 Depth=1
                                        ; =>  This Inner Loop Header: Depth=2
	v_mov_b32_e32 v3, 1
	s_and_saveexec_b64 s[14:15], s[0:1]
	s_cbranch_execz .LBB3_215
; %bb.219:                              ;   in Loop: Header=BB3_218 Depth=2
	global_load_dword v3, v[36:37], off offset:20 sc0 sc1
	s_waitcnt vmcnt(0)
	buffer_inv sc0 sc1
	v_and_b32_e32 v3, 1, v3
	s_branch .LBB3_215
.LBB3_220:                              ;   in Loop: Header=BB3_143 Depth=1
	global_load_dwordx4 v[6:9], v[6:7], off
	s_and_saveexec_b64 s[14:15], s[0:1]
	s_cbranch_execz .LBB3_142
; %bb.221:                              ;   in Loop: Header=BB3_143 Depth=1
	global_load_dwordx2 v[8:9], v35, s[2:3] offset:40
	global_load_dwordx2 v[16:17], v35, s[2:3] offset:24 sc0 sc1
	global_load_dwordx2 v[18:19], v35, s[2:3]
	s_waitcnt vmcnt(2)
	v_lshl_add_u64 v[12:13], v[8:9], 0, 1
	v_lshl_add_u64 v[20:21], v[12:13], 0, s[12:13]
	v_cmp_eq_u64_e32 vcc, 0, v[20:21]
	s_waitcnt vmcnt(1)
	v_mov_b32_e32 v14, v16
	v_mov_b32_e32 v15, v17
	v_cndmask_b32_e32 v13, v21, v13, vcc
	v_cndmask_b32_e32 v12, v20, v12, vcc
	v_and_b32_e32 v3, v13, v9
	v_and_b32_e32 v8, v12, v8
	v_mul_lo_u32 v3, v3, 24
	v_mul_hi_u32 v9, v8, 24
	v_mul_lo_u32 v8, v8, 24
	v_add_u32_e32 v9, v9, v3
	s_waitcnt vmcnt(0)
	v_lshl_add_u64 v[8:9], v[18:19], 0, v[8:9]
	global_store_dwordx2 v[8:9], v[16:17], off
	buffer_wbl2 sc0 sc1
	s_waitcnt vmcnt(0)
	global_atomic_cmpswap_x2 v[14:15], v35, v[12:15], s[2:3] offset:24 sc0 sc1
	s_waitcnt vmcnt(0)
	v_cmp_ne_u64_e32 vcc, v[14:15], v[16:17]
	s_and_b64 exec, exec, vcc
	s_cbranch_execz .LBB3_142
; %bb.222:                              ;   in Loop: Header=BB3_143 Depth=1
	s_mov_b64 s[0:1], 0
.LBB3_223:                              ;   Parent Loop BB3_143 Depth=1
                                        ; =>  This Inner Loop Header: Depth=2
	s_sleep 1
	global_store_dwordx2 v[8:9], v[14:15], off
	buffer_wbl2 sc0 sc1
	s_waitcnt vmcnt(0)
	global_atomic_cmpswap_x2 v[16:17], v35, v[12:15], s[2:3] offset:24 sc0 sc1
	s_waitcnt vmcnt(0)
	v_cmp_eq_u64_e32 vcc, v[16:17], v[14:15]
	s_or_b64 s[0:1], vcc, s[0:1]
	v_mov_b64_e32 v[14:15], v[16:17]
	s_andn2_b64 exec, exec, s[0:1]
	s_cbranch_execnz .LBB3_223
	s_branch .LBB3_142
.LBB3_224:
                                        ; implicit-def: $vgpr6_vgpr7
	s_cbranch_execnz .LBB3_226
	s_branch .LBB3_252
.LBB3_225:
	s_branch .LBB3_252
.LBB3_226:
	v_readfirstlane_b32 s0, v38
	s_waitcnt vmcnt(0)
	v_mov_b64_e32 v[2:3], 0
	v_cmp_eq_u32_e64 s[0:1], s0, v38
	s_and_saveexec_b64 s[4:5], s[0:1]
	s_cbranch_execz .LBB3_232
; %bb.227:
	v_mov_b32_e32 v6, 0
	global_load_dwordx2 v[10:11], v6, s[2:3] offset:24 sc0 sc1
	s_waitcnt vmcnt(0)
	buffer_inv sc0 sc1
	global_load_dwordx2 v[2:3], v6, s[2:3] offset:40
	global_load_dwordx2 v[8:9], v6, s[2:3]
	s_waitcnt vmcnt(1)
	v_and_b32_e32 v2, v2, v10
	v_and_b32_e32 v3, v3, v11
	v_mul_lo_u32 v3, v3, 24
	v_mul_hi_u32 v7, v2, 24
	v_add_u32_e32 v3, v7, v3
	v_mul_lo_u32 v2, v2, 24
	s_waitcnt vmcnt(0)
	v_lshl_add_u64 v[2:3], v[8:9], 0, v[2:3]
	global_load_dwordx2 v[8:9], v[2:3], off sc0 sc1
	s_waitcnt vmcnt(0)
	global_atomic_cmpswap_x2 v[2:3], v6, v[8:11], s[2:3] offset:24 sc0 sc1
	s_waitcnt vmcnt(0)
	buffer_inv sc0 sc1
	v_cmp_ne_u64_e32 vcc, v[2:3], v[10:11]
	s_and_saveexec_b64 s[6:7], vcc
	s_cbranch_execz .LBB3_231
; %bb.228:
	s_mov_b64 s[10:11], 0
.LBB3_229:                              ; =>This Inner Loop Header: Depth=1
	s_sleep 1
	global_load_dwordx2 v[8:9], v6, s[2:3] offset:40
	global_load_dwordx2 v[12:13], v6, s[2:3]
	v_mov_b64_e32 v[10:11], v[2:3]
	s_waitcnt vmcnt(1)
	v_and_b32_e32 v2, v8, v10
	s_waitcnt vmcnt(0)
	v_mad_u64_u32 v[2:3], s[12:13], v2, 24, v[12:13]
	v_and_b32_e32 v7, v9, v11
	v_mov_b32_e32 v8, v3
	v_mad_u64_u32 v[8:9], s[12:13], v7, 24, v[8:9]
	v_mov_b32_e32 v3, v8
	global_load_dwordx2 v[8:9], v[2:3], off sc0 sc1
	s_waitcnt vmcnt(0)
	global_atomic_cmpswap_x2 v[2:3], v6, v[8:11], s[2:3] offset:24 sc0 sc1
	s_waitcnt vmcnt(0)
	buffer_inv sc0 sc1
	v_cmp_eq_u64_e32 vcc, v[2:3], v[10:11]
	s_or_b64 s[10:11], vcc, s[10:11]
	s_andn2_b64 exec, exec, s[10:11]
	s_cbranch_execnz .LBB3_229
; %bb.230:
	s_or_b64 exec, exec, s[10:11]
.LBB3_231:
	s_or_b64 exec, exec, s[6:7]
.LBB3_232:
	s_or_b64 exec, exec, s[4:5]
	v_mov_b32_e32 v33, 0
	global_load_dwordx2 v[10:11], v33, s[2:3] offset:40
	global_load_dwordx4 v[6:9], v33, s[2:3]
	v_readfirstlane_b32 s4, v2
	v_readfirstlane_b32 s5, v3
	s_mov_b64 s[6:7], exec
	s_waitcnt vmcnt(1)
	v_readfirstlane_b32 s10, v10
	v_readfirstlane_b32 s11, v11
	s_and_b64 s[10:11], s[4:5], s[10:11]
	s_mul_i32 s12, s11, 24
	s_mul_hi_u32 s13, s10, 24
	s_add_i32 s13, s13, s12
	s_mul_i32 s12, s10, 24
	s_waitcnt vmcnt(0)
	v_lshl_add_u64 v[10:11], v[6:7], 0, s[12:13]
	s_and_saveexec_b64 s[12:13], s[0:1]
	s_cbranch_execz .LBB3_234
; %bb.233:
	v_mov_b64_e32 v[12:13], s[6:7]
	v_mov_b32_e32 v14, 2
	v_mov_b32_e32 v15, 1
	global_store_dwordx4 v[10:11], v[12:15], off offset:8
.LBB3_234:
	s_or_b64 exec, exec, s[12:13]
	s_lshl_b64 s[6:7], s[10:11], 12
	v_lshl_add_u64 v[8:9], v[8:9], 0, s[6:7]
	s_movk_i32 s6, 0xff1f
	s_mov_b32 s12, 0
	v_and_or_b32 v0, v0, s6, 32
	v_mov_b32_e32 v2, v33
	v_mov_b32_e32 v3, v33
	v_readfirstlane_b32 s6, v8
	v_readfirstlane_b32 s7, v9
	s_mov_b32 s13, s12
	s_mov_b32 s14, s12
	;; [unrolled: 1-line block ×3, first 2 shown]
	s_nop 1
	global_store_dwordx4 v32, v[0:3], s[6:7]
	s_nop 1
	v_mov_b64_e32 v[0:1], s[12:13]
	v_mov_b64_e32 v[2:3], s[14:15]
	global_store_dwordx4 v32, v[0:3], s[6:7] offset:16
	global_store_dwordx4 v32, v[0:3], s[6:7] offset:32
	;; [unrolled: 1-line block ×3, first 2 shown]
	s_and_saveexec_b64 s[6:7], s[0:1]
	s_cbranch_execz .LBB3_242
; %bb.235:
	v_mov_b32_e32 v12, 0
	global_load_dwordx2 v[16:17], v12, s[2:3] offset:32 sc0 sc1
	global_load_dwordx2 v[0:1], v12, s[2:3] offset:40
	v_mov_b32_e32 v14, s4
	v_mov_b32_e32 v15, s5
	s_waitcnt vmcnt(0)
	v_readfirstlane_b32 s10, v0
	v_readfirstlane_b32 s11, v1
	s_and_b64 s[10:11], s[10:11], s[4:5]
	s_mul_i32 s11, s11, 24
	s_mul_hi_u32 s12, s10, 24
	s_mul_i32 s10, s10, 24
	s_add_i32 s11, s12, s11
	v_lshl_add_u64 v[6:7], v[6:7], 0, s[10:11]
	global_store_dwordx2 v[6:7], v[16:17], off
	buffer_wbl2 sc0 sc1
	s_waitcnt vmcnt(0)
	global_atomic_cmpswap_x2 v[2:3], v12, v[14:17], s[2:3] offset:32 sc0 sc1
	s_waitcnt vmcnt(0)
	v_cmp_ne_u64_e32 vcc, v[2:3], v[16:17]
	s_and_saveexec_b64 s[10:11], vcc
	s_cbranch_execz .LBB3_238
; %bb.236:
	s_mov_b64 s[12:13], 0
.LBB3_237:                              ; =>This Inner Loop Header: Depth=1
	s_sleep 1
	global_store_dwordx2 v[6:7], v[2:3], off
	v_mov_b32_e32 v0, s4
	v_mov_b32_e32 v1, s5
	buffer_wbl2 sc0 sc1
	s_waitcnt vmcnt(0)
	global_atomic_cmpswap_x2 v[0:1], v12, v[0:3], s[2:3] offset:32 sc0 sc1
	s_waitcnt vmcnt(0)
	v_cmp_eq_u64_e32 vcc, v[0:1], v[2:3]
	s_or_b64 s[12:13], vcc, s[12:13]
	v_mov_b64_e32 v[2:3], v[0:1]
	s_andn2_b64 exec, exec, s[12:13]
	s_cbranch_execnz .LBB3_237
.LBB3_238:
	s_or_b64 exec, exec, s[10:11]
	v_mov_b32_e32 v3, 0
	global_load_dwordx2 v[0:1], v3, s[2:3] offset:16
	s_mov_b64 s[10:11], exec
	v_mbcnt_lo_u32_b32 v2, s10, 0
	v_mbcnt_hi_u32_b32 v2, s11, v2
	v_cmp_eq_u32_e32 vcc, 0, v2
	s_and_saveexec_b64 s[12:13], vcc
	s_cbranch_execz .LBB3_240
; %bb.239:
	s_bcnt1_i32_b64 s10, s[10:11]
	v_mov_b32_e32 v2, s10
	buffer_wbl2 sc0 sc1
	s_waitcnt vmcnt(0)
	global_atomic_add_x2 v[0:1], v[2:3], off offset:8 sc1
.LBB3_240:
	s_or_b64 exec, exec, s[12:13]
	s_waitcnt vmcnt(0)
	global_load_dwordx2 v[2:3], v[0:1], off offset:16
	s_waitcnt vmcnt(0)
	v_cmp_eq_u64_e32 vcc, 0, v[2:3]
	s_cbranch_vccnz .LBB3_242
; %bb.241:
	global_load_dword v0, v[0:1], off offset:24
	v_mov_b32_e32 v1, 0
	buffer_wbl2 sc0 sc1
	s_waitcnt vmcnt(0)
	global_store_dwordx2 v[2:3], v[0:1], off sc0 sc1
	v_and_b32_e32 v0, 0xffffff, v0
	s_nop 0
	v_readfirstlane_b32 m0, v0
	s_sendmsg sendmsg(MSG_INTERRUPT)
.LBB3_242:
	s_or_b64 exec, exec, s[6:7]
	v_lshl_add_u64 v[0:1], v[8:9], 0, v[32:33]
	s_branch .LBB3_246
.LBB3_243:                              ;   in Loop: Header=BB3_246 Depth=1
	s_or_b64 exec, exec, s[6:7]
	v_readfirstlane_b32 s6, v2
	s_cmp_eq_u32 s6, 0
	s_cbranch_scc1 .LBB3_245
; %bb.244:                              ;   in Loop: Header=BB3_246 Depth=1
	s_sleep 1
	s_cbranch_execnz .LBB3_246
	s_branch .LBB3_248
.LBB3_245:
	s_branch .LBB3_248
.LBB3_246:                              ; =>This Inner Loop Header: Depth=1
	v_mov_b32_e32 v2, 1
	s_and_saveexec_b64 s[6:7], s[0:1]
	s_cbranch_execz .LBB3_243
; %bb.247:                              ;   in Loop: Header=BB3_246 Depth=1
	global_load_dword v2, v[10:11], off offset:20 sc0 sc1
	s_waitcnt vmcnt(0)
	buffer_inv sc0 sc1
	v_and_b32_e32 v2, 1, v2
	s_branch .LBB3_243
.LBB3_248:
	global_load_dwordx2 v[6:7], v[0:1], off
	s_and_saveexec_b64 s[6:7], s[0:1]
	s_cbranch_execz .LBB3_251
; %bb.249:
	v_mov_b32_e32 v10, 0
	global_load_dwordx2 v[8:9], v10, s[2:3] offset:40
	global_load_dwordx2 v[12:13], v10, s[2:3] offset:24 sc0 sc1
	global_load_dwordx2 v[14:15], v10, s[2:3]
	s_mov_b64 s[0:1], 0
	s_waitcnt vmcnt(2)
	v_lshl_add_u64 v[0:1], v[8:9], 0, 1
	v_lshl_add_u64 v[16:17], v[0:1], 0, s[4:5]
	v_cmp_eq_u64_e32 vcc, 0, v[16:17]
	s_waitcnt vmcnt(1)
	v_mov_b32_e32 v2, v12
	v_cndmask_b32_e32 v1, v17, v1, vcc
	v_cndmask_b32_e32 v0, v16, v0, vcc
	v_and_b32_e32 v3, v1, v9
	v_and_b32_e32 v8, v0, v8
	v_mul_lo_u32 v3, v3, 24
	v_mul_hi_u32 v9, v8, 24
	v_mul_lo_u32 v8, v8, 24
	v_add_u32_e32 v9, v9, v3
	s_waitcnt vmcnt(0)
	v_lshl_add_u64 v[8:9], v[14:15], 0, v[8:9]
	global_store_dwordx2 v[8:9], v[12:13], off
	v_mov_b32_e32 v3, v13
	buffer_wbl2 sc0 sc1
	s_waitcnt vmcnt(0)
	global_atomic_cmpswap_x2 v[2:3], v10, v[0:3], s[2:3] offset:24 sc0 sc1
	s_waitcnt vmcnt(0)
	v_cmp_ne_u64_e32 vcc, v[2:3], v[12:13]
	s_and_b64 exec, exec, vcc
	s_cbranch_execz .LBB3_251
.LBB3_250:                              ; =>This Inner Loop Header: Depth=1
	s_sleep 1
	global_store_dwordx2 v[8:9], v[2:3], off
	buffer_wbl2 sc0 sc1
	s_waitcnt vmcnt(0)
	global_atomic_cmpswap_x2 v[12:13], v10, v[0:3], s[2:3] offset:24 sc0 sc1
	s_waitcnt vmcnt(0)
	v_cmp_eq_u64_e32 vcc, v[12:13], v[2:3]
	s_or_b64 s[0:1], vcc, s[0:1]
	v_mov_b64_e32 v[2:3], v[12:13]
	s_andn2_b64 exec, exec, s[0:1]
	s_cbranch_execnz .LBB3_250
.LBB3_251:
	s_or_b64 exec, exec, s[6:7]
.LBB3_252:
	v_readfirstlane_b32 s0, v38
	s_waitcnt vmcnt(0)
	v_mov_b64_e32 v[8:9], 0
	v_cmp_eq_u32_e64 s[0:1], s0, v38
	s_and_saveexec_b64 s[4:5], s[0:1]
	s_cbranch_execz .LBB3_258
; %bb.253:
	v_mov_b32_e32 v0, 0
	global_load_dwordx2 v[10:11], v0, s[2:3] offset:24 sc0 sc1
	s_waitcnt vmcnt(0)
	buffer_inv sc0 sc1
	global_load_dwordx2 v[2:3], v0, s[2:3] offset:40
	global_load_dwordx2 v[8:9], v0, s[2:3]
	s_waitcnt vmcnt(1)
	v_and_b32_e32 v1, v2, v10
	v_and_b32_e32 v2, v3, v11
	v_mul_lo_u32 v2, v2, 24
	v_mul_hi_u32 v3, v1, 24
	v_add_u32_e32 v3, v3, v2
	v_mul_lo_u32 v2, v1, 24
	s_waitcnt vmcnt(0)
	v_lshl_add_u64 v[2:3], v[8:9], 0, v[2:3]
	global_load_dwordx2 v[8:9], v[2:3], off sc0 sc1
	s_waitcnt vmcnt(0)
	global_atomic_cmpswap_x2 v[8:9], v0, v[8:11], s[2:3] offset:24 sc0 sc1
	s_waitcnt vmcnt(0)
	buffer_inv sc0 sc1
	v_cmp_ne_u64_e32 vcc, v[8:9], v[10:11]
	s_and_saveexec_b64 s[6:7], vcc
	s_cbranch_execz .LBB3_257
; %bb.254:
	s_mov_b64 s[10:11], 0
.LBB3_255:                              ; =>This Inner Loop Header: Depth=1
	s_sleep 1
	global_load_dwordx2 v[2:3], v0, s[2:3] offset:40
	global_load_dwordx2 v[12:13], v0, s[2:3]
	v_mov_b64_e32 v[10:11], v[8:9]
	s_waitcnt vmcnt(1)
	v_and_b32_e32 v2, v2, v10
	v_and_b32_e32 v1, v3, v11
	s_waitcnt vmcnt(0)
	v_mad_u64_u32 v[2:3], s[12:13], v2, 24, v[12:13]
	v_mov_b32_e32 v8, v3
	v_mad_u64_u32 v[8:9], s[12:13], v1, 24, v[8:9]
	v_mov_b32_e32 v3, v8
	global_load_dwordx2 v[8:9], v[2:3], off sc0 sc1
	s_waitcnt vmcnt(0)
	global_atomic_cmpswap_x2 v[8:9], v0, v[8:11], s[2:3] offset:24 sc0 sc1
	s_waitcnt vmcnt(0)
	buffer_inv sc0 sc1
	v_cmp_eq_u64_e32 vcc, v[8:9], v[10:11]
	s_or_b64 s[10:11], vcc, s[10:11]
	s_andn2_b64 exec, exec, s[10:11]
	s_cbranch_execnz .LBB3_255
; %bb.256:
	s_or_b64 exec, exec, s[10:11]
.LBB3_257:
	s_or_b64 exec, exec, s[6:7]
.LBB3_258:
	s_or_b64 exec, exec, s[4:5]
	v_mov_b32_e32 v33, 0
	global_load_dwordx2 v[10:11], v33, s[2:3] offset:40
	global_load_dwordx4 v[0:3], v33, s[2:3]
	v_readfirstlane_b32 s4, v8
	v_readfirstlane_b32 s5, v9
	s_mov_b64 s[6:7], exec
	s_waitcnt vmcnt(1)
	v_readfirstlane_b32 s10, v10
	v_readfirstlane_b32 s11, v11
	s_and_b64 s[10:11], s[4:5], s[10:11]
	s_mul_i32 s12, s11, 24
	s_mul_hi_u32 s13, s10, 24
	s_add_i32 s13, s13, s12
	s_mul_i32 s12, s10, 24
	s_waitcnt vmcnt(0)
	v_lshl_add_u64 v[10:11], v[0:1], 0, s[12:13]
	s_and_saveexec_b64 s[12:13], s[0:1]
	s_cbranch_execz .LBB3_260
; %bb.259:
	v_mov_b64_e32 v[12:13], s[6:7]
	v_mov_b32_e32 v14, 2
	v_mov_b32_e32 v15, 1
	global_store_dwordx4 v[10:11], v[12:15], off offset:8
.LBB3_260:
	s_or_b64 exec, exec, s[12:13]
	s_lshl_b64 s[6:7], s[10:11], 12
	v_lshl_add_u64 v[12:13], v[2:3], 0, s[6:7]
	s_movk_i32 s6, 0xff1f
	s_mov_b32 s12, 0
	v_and_or_b32 v6, v6, s6, 32
	v_mov_b32_e32 v8, 0x331
	v_mov_b32_e32 v9, v33
	v_readfirstlane_b32 s6, v12
	v_readfirstlane_b32 s7, v13
	s_mov_b32 s13, s12
	s_mov_b32 s14, s12
	;; [unrolled: 1-line block ×3, first 2 shown]
	s_nop 1
	global_store_dwordx4 v32, v[6:9], s[6:7]
	s_nop 1
	v_mov_b64_e32 v[6:7], s[12:13]
	v_mov_b64_e32 v[8:9], s[14:15]
	global_store_dwordx4 v32, v[6:9], s[6:7] offset:16
	global_store_dwordx4 v32, v[6:9], s[6:7] offset:32
	;; [unrolled: 1-line block ×3, first 2 shown]
	s_and_saveexec_b64 s[6:7], s[0:1]
	s_cbranch_execz .LBB3_268
; %bb.261:
	v_mov_b32_e32 v8, 0
	global_load_dwordx2 v[16:17], v8, s[2:3] offset:32 sc0 sc1
	global_load_dwordx2 v[2:3], v8, s[2:3] offset:40
	v_mov_b32_e32 v14, s4
	v_mov_b32_e32 v15, s5
	s_waitcnt vmcnt(0)
	v_readfirstlane_b32 s10, v2
	v_readfirstlane_b32 s11, v3
	s_and_b64 s[10:11], s[10:11], s[4:5]
	s_mul_i32 s11, s11, 24
	s_mul_hi_u32 s12, s10, 24
	s_mul_i32 s10, s10, 24
	s_add_i32 s11, s12, s11
	v_lshl_add_u64 v[6:7], v[0:1], 0, s[10:11]
	global_store_dwordx2 v[6:7], v[16:17], off
	buffer_wbl2 sc0 sc1
	s_waitcnt vmcnt(0)
	global_atomic_cmpswap_x2 v[2:3], v8, v[14:17], s[2:3] offset:32 sc0 sc1
	s_waitcnt vmcnt(0)
	v_cmp_ne_u64_e32 vcc, v[2:3], v[16:17]
	s_and_saveexec_b64 s[10:11], vcc
	s_cbranch_execz .LBB3_264
; %bb.262:
	s_mov_b64 s[12:13], 0
.LBB3_263:                              ; =>This Inner Loop Header: Depth=1
	s_sleep 1
	global_store_dwordx2 v[6:7], v[2:3], off
	v_mov_b32_e32 v0, s4
	v_mov_b32_e32 v1, s5
	buffer_wbl2 sc0 sc1
	s_waitcnt vmcnt(0)
	global_atomic_cmpswap_x2 v[0:1], v8, v[0:3], s[2:3] offset:32 sc0 sc1
	s_waitcnt vmcnt(0)
	v_cmp_eq_u64_e32 vcc, v[0:1], v[2:3]
	s_or_b64 s[12:13], vcc, s[12:13]
	v_mov_b64_e32 v[2:3], v[0:1]
	s_andn2_b64 exec, exec, s[12:13]
	s_cbranch_execnz .LBB3_263
.LBB3_264:
	s_or_b64 exec, exec, s[10:11]
	v_mov_b32_e32 v3, 0
	global_load_dwordx2 v[0:1], v3, s[2:3] offset:16
	s_mov_b64 s[10:11], exec
	v_mbcnt_lo_u32_b32 v2, s10, 0
	v_mbcnt_hi_u32_b32 v2, s11, v2
	v_cmp_eq_u32_e32 vcc, 0, v2
	s_and_saveexec_b64 s[12:13], vcc
	s_cbranch_execz .LBB3_266
; %bb.265:
	s_bcnt1_i32_b64 s10, s[10:11]
	v_mov_b32_e32 v2, s10
	buffer_wbl2 sc0 sc1
	s_waitcnt vmcnt(0)
	global_atomic_add_x2 v[0:1], v[2:3], off offset:8 sc1
.LBB3_266:
	s_or_b64 exec, exec, s[12:13]
	s_waitcnt vmcnt(0)
	global_load_dwordx2 v[2:3], v[0:1], off offset:16
	s_waitcnt vmcnt(0)
	v_cmp_eq_u64_e32 vcc, 0, v[2:3]
	s_cbranch_vccnz .LBB3_268
; %bb.267:
	global_load_dword v0, v[0:1], off offset:24
	v_mov_b32_e32 v1, 0
	buffer_wbl2 sc0 sc1
	s_waitcnt vmcnt(0)
	global_store_dwordx2 v[2:3], v[0:1], off sc0 sc1
	v_and_b32_e32 v0, 0xffffff, v0
	s_nop 0
	v_readfirstlane_b32 m0, v0
	s_sendmsg sendmsg(MSG_INTERRUPT)
.LBB3_268:
	s_or_b64 exec, exec, s[6:7]
	v_lshl_add_u64 v[0:1], v[12:13], 0, v[32:33]
	s_branch .LBB3_272
.LBB3_269:                              ;   in Loop: Header=BB3_272 Depth=1
	s_or_b64 exec, exec, s[6:7]
	v_readfirstlane_b32 s6, v2
	s_cmp_eq_u32 s6, 0
	s_cbranch_scc1 .LBB3_271
; %bb.270:                              ;   in Loop: Header=BB3_272 Depth=1
	s_sleep 1
	s_cbranch_execnz .LBB3_272
	s_branch .LBB3_274
.LBB3_271:
	s_branch .LBB3_274
.LBB3_272:                              ; =>This Inner Loop Header: Depth=1
	v_mov_b32_e32 v2, 1
	s_and_saveexec_b64 s[6:7], s[0:1]
	s_cbranch_execz .LBB3_269
; %bb.273:                              ;   in Loop: Header=BB3_272 Depth=1
	global_load_dword v2, v[10:11], off offset:20 sc0 sc1
	s_waitcnt vmcnt(0)
	buffer_inv sc0 sc1
	v_and_b32_e32 v2, 1, v2
	s_branch .LBB3_269
.LBB3_274:
	global_load_dwordx2 v[0:1], v[0:1], off
	s_and_saveexec_b64 s[6:7], s[0:1]
	s_cbranch_execz .LBB3_277
; %bb.275:
	v_mov_b32_e32 v10, 0
	global_load_dwordx2 v[2:3], v10, s[2:3] offset:40
	global_load_dwordx2 v[12:13], v10, s[2:3] offset:24 sc0 sc1
	global_load_dwordx2 v[14:15], v10, s[2:3]
	s_mov_b64 s[0:1], 0
	s_waitcnt vmcnt(2)
	v_lshl_add_u64 v[6:7], v[2:3], 0, 1
	v_lshl_add_u64 v[16:17], v[6:7], 0, s[4:5]
	v_cmp_eq_u64_e32 vcc, 0, v[16:17]
	s_waitcnt vmcnt(1)
	v_mov_b32_e32 v8, v12
	v_cndmask_b32_e32 v7, v17, v7, vcc
	v_cndmask_b32_e32 v6, v16, v6, vcc
	v_and_b32_e32 v3, v7, v3
	v_and_b32_e32 v2, v6, v2
	v_mul_lo_u32 v3, v3, 24
	v_mul_hi_u32 v9, v2, 24
	v_mul_lo_u32 v2, v2, 24
	v_add_u32_e32 v3, v9, v3
	s_waitcnt vmcnt(0)
	v_lshl_add_u64 v[2:3], v[14:15], 0, v[2:3]
	global_store_dwordx2 v[2:3], v[12:13], off
	v_mov_b32_e32 v9, v13
	buffer_wbl2 sc0 sc1
	s_waitcnt vmcnt(0)
	global_atomic_cmpswap_x2 v[8:9], v10, v[6:9], s[2:3] offset:24 sc0 sc1
	s_waitcnt vmcnt(0)
	v_cmp_ne_u64_e32 vcc, v[8:9], v[12:13]
	s_and_b64 exec, exec, vcc
	s_cbranch_execz .LBB3_277
.LBB3_276:                              ; =>This Inner Loop Header: Depth=1
	s_sleep 1
	global_store_dwordx2 v[2:3], v[8:9], off
	buffer_wbl2 sc0 sc1
	s_waitcnt vmcnt(0)
	global_atomic_cmpswap_x2 v[12:13], v10, v[6:9], s[2:3] offset:24 sc0 sc1
	s_waitcnt vmcnt(0)
	v_cmp_eq_u64_e32 vcc, v[12:13], v[8:9]
	s_or_b64 s[0:1], vcc, s[0:1]
	v_mov_b64_e32 v[8:9], v[12:13]
	s_andn2_b64 exec, exec, s[0:1]
	s_cbranch_execnz .LBB3_276
.LBB3_277:
	s_or_b64 exec, exec, s[6:7]
	s_mov_b64 s[0:1], 0
	v_mov_b64_e32 v[2:3], v[4:5]
.LBB3_278:                              ; =>This Inner Loop Header: Depth=1
	flat_load_ubyte v6, v[2:3]
	v_lshl_add_u64 v[2:3], v[2:3], 0, 1
	s_waitcnt vmcnt(0) lgkmcnt(0)
	v_cmp_eq_u16_e32 vcc, 0, v6
	s_or_b64 s[0:1], vcc, s[0:1]
	s_andn2_b64 exec, exec, s[0:1]
	s_cbranch_execnz .LBB3_278
; %bb.279:
	s_or_b64 exec, exec, s[0:1]
	s_mov_b64 s[4:5], 0
	v_cmp_ne_u64_e32 vcc, 0, v[4:5]
	s_and_saveexec_b64 s[0:1], vcc
	s_xor_b64 s[6:7], exec, s[0:1]
	s_cbranch_execz .LBB3_365
; %bb.280:
	v_sub_u32_e32 v26, v2, v4
	v_ashrrev_i32_e32 v27, 31, v26
	v_and_b32_e32 v28, 2, v0
	v_mov_b32_e32 v33, 0
	v_and_b32_e32 v0, -3, v0
	s_mov_b32 s18, 0
	s_movk_i32 s19, 0xff1f
	v_mov_b32_e32 v8, 2
	v_mov_b32_e32 v9, 1
	s_branch .LBB3_282
.LBB3_281:                              ;   in Loop: Header=BB3_282 Depth=1
	s_or_b64 exec, exec, s[12:13]
	v_sub_co_u32_e32 v26, vcc, v26, v30
	v_lshl_add_u64 v[4:5], v[4:5], 0, v[30:31]
	s_nop 0
	v_subb_co_u32_e32 v27, vcc, v27, v31, vcc
	v_cmp_eq_u64_e32 vcc, 0, v[26:27]
	s_or_b64 s[4:5], vcc, s[4:5]
	s_andn2_b64 exec, exec, s[4:5]
	s_cbranch_execz .LBB3_364
.LBB3_282:                              ; =>This Loop Header: Depth=1
                                        ;     Child Loop BB3_285 Depth 2
                                        ;     Child Loop BB3_293 Depth 2
	;; [unrolled: 1-line block ×11, first 2 shown]
	v_cmp_gt_u64_e32 vcc, 56, v[26:27]
                                        ; implicit-def: $vgpr2_vgpr3
                                        ; implicit-def: $sgpr10
	s_nop 1
	v_cndmask_b32_e32 v31, 0, v27, vcc
	v_cndmask_b32_e32 v30, 56, v26, vcc
	v_cmp_gt_u64_e32 vcc, 8, v[26:27]
	s_and_saveexec_b64 s[0:1], vcc
	s_xor_b64 s[0:1], exec, s[0:1]
	s_cbranch_execz .LBB3_288
; %bb.283:                              ;   in Loop: Header=BB3_282 Depth=1
	s_mov_b64 s[12:13], 0
	v_cmp_ne_u64_e32 vcc, 0, v[26:27]
	s_waitcnt vmcnt(0)
	v_mov_b64_e32 v[2:3], 0
	s_and_saveexec_b64 s[10:11], vcc
	s_cbranch_execz .LBB3_287
; %bb.284:                              ;   in Loop: Header=BB3_282 Depth=1
	v_lshlrev_b64 v[6:7], 3, v[30:31]
	v_mov_b64_e32 v[2:3], 0
	v_mov_b64_e32 v[10:11], v[4:5]
	s_mov_b64 s[14:15], 0
.LBB3_285:                              ;   Parent Loop BB3_282 Depth=1
                                        ; =>  This Inner Loop Header: Depth=2
	flat_load_ubyte v7, v[10:11]
	v_mov_b32_e32 v13, s18
	v_lshl_add_u64 v[10:11], v[10:11], 0, 1
	s_waitcnt vmcnt(0) lgkmcnt(0)
	v_and_b32_e32 v12, 0xffff, v7
	v_lshlrev_b64 v[12:13], s14, v[12:13]
	s_add_u32 s14, s14, 8
	s_addc_u32 s15, s15, 0
	v_cmp_eq_u32_e32 vcc, s14, v6
	v_or_b32_e32 v3, v13, v3
	s_or_b64 s[12:13], vcc, s[12:13]
	v_or_b32_e32 v2, v12, v2
	s_andn2_b64 exec, exec, s[12:13]
	s_cbranch_execnz .LBB3_285
; %bb.286:                              ;   in Loop: Header=BB3_282 Depth=1
	s_or_b64 exec, exec, s[12:13]
.LBB3_287:                              ;   in Loop: Header=BB3_282 Depth=1
	s_or_b64 exec, exec, s[10:11]
	s_mov_b32 s10, 0
.LBB3_288:                              ;   in Loop: Header=BB3_282 Depth=1
	s_or_saveexec_b64 s[0:1], s[0:1]
	v_mov_b32_e32 v12, s10
	v_mov_b64_e32 v[6:7], v[4:5]
	s_xor_b64 exec, exec, s[0:1]
	s_cbranch_execz .LBB3_290
; %bb.289:                              ;   in Loop: Header=BB3_282 Depth=1
	s_waitcnt vmcnt(0)
	flat_load_dwordx2 v[2:3], v[4:5]
	v_add_u32_e32 v12, -8, v30
	s_waitcnt vmcnt(0) lgkmcnt(0)
	v_and_b32_e32 v6, 0xff, v3
	v_and_b32_e32 v7, 0xff00, v3
	;; [unrolled: 1-line block ×4, first 2 shown]
	v_or_b32_e32 v6, v6, v7
	v_or3_b32 v2, v2, 0, 0
	v_or3_b32 v3, v6, v10, v3
	v_lshl_add_u64 v[6:7], v[4:5], 0, 8
.LBB3_290:                              ;   in Loop: Header=BB3_282 Depth=1
	s_or_b64 exec, exec, s[0:1]
	v_cmp_gt_u32_e32 vcc, 8, v12
                                        ; implicit-def: $vgpr10_vgpr11
                                        ; implicit-def: $sgpr10
	s_and_saveexec_b64 s[0:1], vcc
	s_xor_b64 s[0:1], exec, s[0:1]
	s_cbranch_execz .LBB3_296
; %bb.291:                              ;   in Loop: Header=BB3_282 Depth=1
	v_cmp_ne_u32_e32 vcc, 0, v12
	v_mov_b64_e32 v[10:11], 0
	s_and_saveexec_b64 s[10:11], vcc
	s_cbranch_execz .LBB3_295
; %bb.292:                              ;   in Loop: Header=BB3_282 Depth=1
	s_mov_b64 s[12:13], 0
	v_mov_b64_e32 v[10:11], 0
	s_mov_b64 s[14:15], 0
	s_mov_b64 s[16:17], 0
.LBB3_293:                              ;   Parent Loop BB3_282 Depth=1
                                        ; =>  This Inner Loop Header: Depth=2
	v_lshl_add_u64 v[14:15], v[6:7], 0, s[16:17]
	flat_load_ubyte v13, v[14:15]
	s_add_u32 s16, s16, 1
	v_mov_b32_e32 v15, s18
	s_addc_u32 s17, s17, 0
	v_cmp_eq_u32_e32 vcc, s16, v12
	s_waitcnt vmcnt(0) lgkmcnt(0)
	v_and_b32_e32 v14, 0xffff, v13
	v_lshlrev_b64 v[14:15], s14, v[14:15]
	s_add_u32 s14, s14, 8
	s_addc_u32 s15, s15, 0
	v_or_b32_e32 v11, v15, v11
	s_or_b64 s[12:13], vcc, s[12:13]
	v_or_b32_e32 v10, v14, v10
	s_andn2_b64 exec, exec, s[12:13]
	s_cbranch_execnz .LBB3_293
; %bb.294:                              ;   in Loop: Header=BB3_282 Depth=1
	s_or_b64 exec, exec, s[12:13]
.LBB3_295:                              ;   in Loop: Header=BB3_282 Depth=1
	s_or_b64 exec, exec, s[10:11]
	s_mov_b32 s10, 0
                                        ; implicit-def: $vgpr12
.LBB3_296:                              ;   in Loop: Header=BB3_282 Depth=1
	s_or_saveexec_b64 s[0:1], s[0:1]
	v_mov_b32_e32 v14, s10
	s_xor_b64 exec, exec, s[0:1]
	s_cbranch_execz .LBB3_298
; %bb.297:                              ;   in Loop: Header=BB3_282 Depth=1
	flat_load_dwordx2 v[10:11], v[6:7]
	v_add_u32_e32 v14, -8, v12
	v_lshl_add_u64 v[6:7], v[6:7], 0, 8
	s_waitcnt vmcnt(0) lgkmcnt(0)
	v_and_b32_e32 v12, 0xff, v11
	v_and_b32_e32 v13, 0xff00, v11
	;; [unrolled: 1-line block ×4, first 2 shown]
	v_or_b32_e32 v12, v12, v13
	v_or3_b32 v10, v10, 0, 0
	v_or3_b32 v11, v12, v15, v11
.LBB3_298:                              ;   in Loop: Header=BB3_282 Depth=1
	s_or_b64 exec, exec, s[0:1]
	v_cmp_gt_u32_e32 vcc, 8, v14
                                        ; implicit-def: $sgpr10
	s_and_saveexec_b64 s[0:1], vcc
	s_xor_b64 s[0:1], exec, s[0:1]
	s_cbranch_execz .LBB3_304
; %bb.299:                              ;   in Loop: Header=BB3_282 Depth=1
	v_cmp_ne_u32_e32 vcc, 0, v14
	v_mov_b64_e32 v[12:13], 0
	s_and_saveexec_b64 s[10:11], vcc
	s_cbranch_execz .LBB3_303
; %bb.300:                              ;   in Loop: Header=BB3_282 Depth=1
	s_mov_b64 s[12:13], 0
	v_mov_b64_e32 v[12:13], 0
	s_mov_b64 s[14:15], 0
	s_mov_b64 s[16:17], 0
.LBB3_301:                              ;   Parent Loop BB3_282 Depth=1
                                        ; =>  This Inner Loop Header: Depth=2
	v_lshl_add_u64 v[16:17], v[6:7], 0, s[16:17]
	flat_load_ubyte v15, v[16:17]
	s_add_u32 s16, s16, 1
	v_mov_b32_e32 v17, s18
	s_addc_u32 s17, s17, 0
	v_cmp_eq_u32_e32 vcc, s16, v14
	s_waitcnt vmcnt(0) lgkmcnt(0)
	v_and_b32_e32 v16, 0xffff, v15
	v_lshlrev_b64 v[16:17], s14, v[16:17]
	s_add_u32 s14, s14, 8
	s_addc_u32 s15, s15, 0
	v_or_b32_e32 v13, v17, v13
	s_or_b64 s[12:13], vcc, s[12:13]
	v_or_b32_e32 v12, v16, v12
	s_andn2_b64 exec, exec, s[12:13]
	s_cbranch_execnz .LBB3_301
; %bb.302:                              ;   in Loop: Header=BB3_282 Depth=1
	s_or_b64 exec, exec, s[12:13]
.LBB3_303:                              ;   in Loop: Header=BB3_282 Depth=1
	s_or_b64 exec, exec, s[10:11]
	s_mov_b32 s10, 0
                                        ; implicit-def: $vgpr14
.LBB3_304:                              ;   in Loop: Header=BB3_282 Depth=1
	s_or_saveexec_b64 s[0:1], s[0:1]
	v_mov_b32_e32 v16, s10
	s_xor_b64 exec, exec, s[0:1]
	s_cbranch_execz .LBB3_306
; %bb.305:                              ;   in Loop: Header=BB3_282 Depth=1
	flat_load_dwordx2 v[12:13], v[6:7]
	v_add_u32_e32 v16, -8, v14
	v_lshl_add_u64 v[6:7], v[6:7], 0, 8
	s_waitcnt vmcnt(0) lgkmcnt(0)
	v_and_b32_e32 v14, 0xff, v13
	v_and_b32_e32 v15, 0xff00, v13
	;; [unrolled: 1-line block ×4, first 2 shown]
	v_or_b32_e32 v14, v14, v15
	v_or3_b32 v12, v12, 0, 0
	v_or3_b32 v13, v14, v17, v13
.LBB3_306:                              ;   in Loop: Header=BB3_282 Depth=1
	s_or_b64 exec, exec, s[0:1]
	v_cmp_gt_u32_e32 vcc, 8, v16
                                        ; implicit-def: $vgpr14_vgpr15
                                        ; implicit-def: $sgpr10
	s_and_saveexec_b64 s[0:1], vcc
	s_xor_b64 s[0:1], exec, s[0:1]
	s_cbranch_execz .LBB3_312
; %bb.307:                              ;   in Loop: Header=BB3_282 Depth=1
	v_cmp_ne_u32_e32 vcc, 0, v16
	v_mov_b64_e32 v[14:15], 0
	s_and_saveexec_b64 s[10:11], vcc
	s_cbranch_execz .LBB3_311
; %bb.308:                              ;   in Loop: Header=BB3_282 Depth=1
	s_mov_b64 s[12:13], 0
	v_mov_b64_e32 v[14:15], 0
	s_mov_b64 s[14:15], 0
	s_mov_b64 s[16:17], 0
.LBB3_309:                              ;   Parent Loop BB3_282 Depth=1
                                        ; =>  This Inner Loop Header: Depth=2
	v_lshl_add_u64 v[18:19], v[6:7], 0, s[16:17]
	flat_load_ubyte v17, v[18:19]
	s_add_u32 s16, s16, 1
	v_mov_b32_e32 v19, s18
	s_addc_u32 s17, s17, 0
	v_cmp_eq_u32_e32 vcc, s16, v16
	s_waitcnt vmcnt(0) lgkmcnt(0)
	v_and_b32_e32 v18, 0xffff, v17
	v_lshlrev_b64 v[18:19], s14, v[18:19]
	s_add_u32 s14, s14, 8
	s_addc_u32 s15, s15, 0
	v_or_b32_e32 v15, v19, v15
	s_or_b64 s[12:13], vcc, s[12:13]
	v_or_b32_e32 v14, v18, v14
	s_andn2_b64 exec, exec, s[12:13]
	s_cbranch_execnz .LBB3_309
; %bb.310:                              ;   in Loop: Header=BB3_282 Depth=1
	s_or_b64 exec, exec, s[12:13]
.LBB3_311:                              ;   in Loop: Header=BB3_282 Depth=1
	s_or_b64 exec, exec, s[10:11]
	s_mov_b32 s10, 0
                                        ; implicit-def: $vgpr16
.LBB3_312:                              ;   in Loop: Header=BB3_282 Depth=1
	s_or_saveexec_b64 s[0:1], s[0:1]
	v_mov_b32_e32 v18, s10
	s_xor_b64 exec, exec, s[0:1]
	s_cbranch_execz .LBB3_314
; %bb.313:                              ;   in Loop: Header=BB3_282 Depth=1
	flat_load_dwordx2 v[14:15], v[6:7]
	v_add_u32_e32 v18, -8, v16
	v_lshl_add_u64 v[6:7], v[6:7], 0, 8
	s_waitcnt vmcnt(0) lgkmcnt(0)
	v_and_b32_e32 v16, 0xff, v15
	v_and_b32_e32 v17, 0xff00, v15
	;; [unrolled: 1-line block ×4, first 2 shown]
	v_or_b32_e32 v16, v16, v17
	v_or3_b32 v14, v14, 0, 0
	v_or3_b32 v15, v16, v19, v15
.LBB3_314:                              ;   in Loop: Header=BB3_282 Depth=1
	s_or_b64 exec, exec, s[0:1]
	v_cmp_gt_u32_e32 vcc, 8, v18
                                        ; implicit-def: $sgpr10
	s_and_saveexec_b64 s[0:1], vcc
	s_xor_b64 s[0:1], exec, s[0:1]
	s_cbranch_execz .LBB3_320
; %bb.315:                              ;   in Loop: Header=BB3_282 Depth=1
	v_cmp_ne_u32_e32 vcc, 0, v18
	v_mov_b64_e32 v[16:17], 0
	s_and_saveexec_b64 s[10:11], vcc
	s_cbranch_execz .LBB3_319
; %bb.316:                              ;   in Loop: Header=BB3_282 Depth=1
	s_mov_b64 s[12:13], 0
	v_mov_b64_e32 v[16:17], 0
	s_mov_b64 s[14:15], 0
	s_mov_b64 s[16:17], 0
.LBB3_317:                              ;   Parent Loop BB3_282 Depth=1
                                        ; =>  This Inner Loop Header: Depth=2
	v_lshl_add_u64 v[20:21], v[6:7], 0, s[16:17]
	flat_load_ubyte v19, v[20:21]
	s_add_u32 s16, s16, 1
	v_mov_b32_e32 v21, s18
	s_addc_u32 s17, s17, 0
	v_cmp_eq_u32_e32 vcc, s16, v18
	s_waitcnt vmcnt(0) lgkmcnt(0)
	v_and_b32_e32 v20, 0xffff, v19
	v_lshlrev_b64 v[20:21], s14, v[20:21]
	s_add_u32 s14, s14, 8
	s_addc_u32 s15, s15, 0
	v_or_b32_e32 v17, v21, v17
	s_or_b64 s[12:13], vcc, s[12:13]
	v_or_b32_e32 v16, v20, v16
	s_andn2_b64 exec, exec, s[12:13]
	s_cbranch_execnz .LBB3_317
; %bb.318:                              ;   in Loop: Header=BB3_282 Depth=1
	s_or_b64 exec, exec, s[12:13]
.LBB3_319:                              ;   in Loop: Header=BB3_282 Depth=1
	s_or_b64 exec, exec, s[10:11]
	s_mov_b32 s10, 0
                                        ; implicit-def: $vgpr18
.LBB3_320:                              ;   in Loop: Header=BB3_282 Depth=1
	s_or_saveexec_b64 s[0:1], s[0:1]
	v_mov_b32_e32 v20, s10
	s_xor_b64 exec, exec, s[0:1]
	s_cbranch_execz .LBB3_322
; %bb.321:                              ;   in Loop: Header=BB3_282 Depth=1
	flat_load_dwordx2 v[16:17], v[6:7]
	v_add_u32_e32 v20, -8, v18
	v_lshl_add_u64 v[6:7], v[6:7], 0, 8
	s_waitcnt vmcnt(0) lgkmcnt(0)
	v_and_b32_e32 v18, 0xff, v17
	v_and_b32_e32 v19, 0xff00, v17
	;; [unrolled: 1-line block ×4, first 2 shown]
	v_or_b32_e32 v18, v18, v19
	v_or3_b32 v16, v16, 0, 0
	v_or3_b32 v17, v18, v21, v17
.LBB3_322:                              ;   in Loop: Header=BB3_282 Depth=1
	s_or_b64 exec, exec, s[0:1]
	v_cmp_gt_u32_e32 vcc, 8, v20
                                        ; implicit-def: $vgpr18_vgpr19
                                        ; implicit-def: $sgpr10
	s_and_saveexec_b64 s[0:1], vcc
	s_xor_b64 s[0:1], exec, s[0:1]
	s_cbranch_execz .LBB3_328
; %bb.323:                              ;   in Loop: Header=BB3_282 Depth=1
	v_cmp_ne_u32_e32 vcc, 0, v20
	v_mov_b64_e32 v[18:19], 0
	s_and_saveexec_b64 s[10:11], vcc
	s_cbranch_execz .LBB3_327
; %bb.324:                              ;   in Loop: Header=BB3_282 Depth=1
	s_mov_b64 s[12:13], 0
	v_mov_b64_e32 v[18:19], 0
	s_mov_b64 s[14:15], 0
	s_mov_b64 s[16:17], 0
.LBB3_325:                              ;   Parent Loop BB3_282 Depth=1
                                        ; =>  This Inner Loop Header: Depth=2
	v_lshl_add_u64 v[22:23], v[6:7], 0, s[16:17]
	flat_load_ubyte v21, v[22:23]
	s_add_u32 s16, s16, 1
	v_mov_b32_e32 v23, s18
	s_addc_u32 s17, s17, 0
	v_cmp_eq_u32_e32 vcc, s16, v20
	s_waitcnt vmcnt(0) lgkmcnt(0)
	v_and_b32_e32 v22, 0xffff, v21
	v_lshlrev_b64 v[22:23], s14, v[22:23]
	s_add_u32 s14, s14, 8
	s_addc_u32 s15, s15, 0
	v_or_b32_e32 v19, v23, v19
	s_or_b64 s[12:13], vcc, s[12:13]
	v_or_b32_e32 v18, v22, v18
	s_andn2_b64 exec, exec, s[12:13]
	s_cbranch_execnz .LBB3_325
; %bb.326:                              ;   in Loop: Header=BB3_282 Depth=1
	s_or_b64 exec, exec, s[12:13]
.LBB3_327:                              ;   in Loop: Header=BB3_282 Depth=1
	s_or_b64 exec, exec, s[10:11]
	s_mov_b32 s10, 0
                                        ; implicit-def: $vgpr20
.LBB3_328:                              ;   in Loop: Header=BB3_282 Depth=1
	s_or_saveexec_b64 s[0:1], s[0:1]
	v_mov_b32_e32 v22, s10
	s_xor_b64 exec, exec, s[0:1]
	s_cbranch_execz .LBB3_330
; %bb.329:                              ;   in Loop: Header=BB3_282 Depth=1
	flat_load_dwordx2 v[18:19], v[6:7]
	v_add_u32_e32 v22, -8, v20
	v_lshl_add_u64 v[6:7], v[6:7], 0, 8
	s_waitcnt vmcnt(0) lgkmcnt(0)
	v_and_b32_e32 v20, 0xff, v19
	v_and_b32_e32 v21, 0xff00, v19
	;; [unrolled: 1-line block ×4, first 2 shown]
	v_or_b32_e32 v20, v20, v21
	v_or3_b32 v18, v18, 0, 0
	v_or3_b32 v19, v20, v23, v19
.LBB3_330:                              ;   in Loop: Header=BB3_282 Depth=1
	s_or_b64 exec, exec, s[0:1]
	v_cmp_gt_u32_e32 vcc, 8, v22
	s_and_saveexec_b64 s[0:1], vcc
	s_xor_b64 s[0:1], exec, s[0:1]
	s_cbranch_execz .LBB3_336
; %bb.331:                              ;   in Loop: Header=BB3_282 Depth=1
	v_cmp_ne_u32_e32 vcc, 0, v22
	v_mov_b64_e32 v[20:21], 0
	s_and_saveexec_b64 s[10:11], vcc
	s_cbranch_execz .LBB3_335
; %bb.332:                              ;   in Loop: Header=BB3_282 Depth=1
	s_mov_b64 s[12:13], 0
	v_mov_b64_e32 v[20:21], 0
	s_mov_b64 s[14:15], 0
.LBB3_333:                              ;   Parent Loop BB3_282 Depth=1
                                        ; =>  This Inner Loop Header: Depth=2
	flat_load_ubyte v23, v[6:7]
	v_mov_b32_e32 v25, s18
	v_add_u32_e32 v22, -1, v22
	v_cmp_eq_u32_e32 vcc, 0, v22
	v_lshl_add_u64 v[6:7], v[6:7], 0, 1
	s_waitcnt vmcnt(0) lgkmcnt(0)
	v_and_b32_e32 v24, 0xffff, v23
	v_lshlrev_b64 v[24:25], s14, v[24:25]
	s_add_u32 s14, s14, 8
	s_addc_u32 s15, s15, 0
	v_or_b32_e32 v21, v25, v21
	s_or_b64 s[12:13], vcc, s[12:13]
	v_or_b32_e32 v20, v24, v20
	s_andn2_b64 exec, exec, s[12:13]
	s_cbranch_execnz .LBB3_333
; %bb.334:                              ;   in Loop: Header=BB3_282 Depth=1
	s_or_b64 exec, exec, s[12:13]
.LBB3_335:                              ;   in Loop: Header=BB3_282 Depth=1
	s_or_b64 exec, exec, s[10:11]
                                        ; implicit-def: $vgpr6_vgpr7
.LBB3_336:                              ;   in Loop: Header=BB3_282 Depth=1
	s_andn2_saveexec_b64 s[0:1], s[0:1]
	s_cbranch_execz .LBB3_338
; %bb.337:                              ;   in Loop: Header=BB3_282 Depth=1
	flat_load_dwordx2 v[6:7], v[6:7]
	s_waitcnt vmcnt(0) lgkmcnt(0)
	v_and_b32_e32 v20, 0xff, v7
	v_and_b32_e32 v21, 0xff00, v7
	;; [unrolled: 1-line block ×4, first 2 shown]
	v_or_b32_e32 v20, v20, v21
	v_or3_b32 v21, v20, v22, v7
	v_or3_b32 v20, v6, 0, 0
.LBB3_338:                              ;   in Loop: Header=BB3_282 Depth=1
	s_or_b64 exec, exec, s[0:1]
	v_readfirstlane_b32 s0, v38
	v_mov_b64_e32 v[6:7], 0
	s_nop 0
	v_cmp_eq_u32_e64 s[0:1], s0, v38
	s_and_saveexec_b64 s[10:11], s[0:1]
	s_cbranch_execz .LBB3_344
; %bb.339:                              ;   in Loop: Header=BB3_282 Depth=1
	global_load_dwordx2 v[24:25], v33, s[2:3] offset:24 sc0 sc1
	s_waitcnt vmcnt(0)
	buffer_inv sc0 sc1
	global_load_dwordx2 v[6:7], v33, s[2:3] offset:40
	global_load_dwordx2 v[22:23], v33, s[2:3]
	s_waitcnt vmcnt(1)
	v_and_b32_e32 v6, v6, v24
	v_and_b32_e32 v7, v7, v25
	v_mul_lo_u32 v7, v7, 24
	v_mul_hi_u32 v29, v6, 24
	v_add_u32_e32 v7, v29, v7
	v_mul_lo_u32 v6, v6, 24
	s_waitcnt vmcnt(0)
	v_lshl_add_u64 v[6:7], v[22:23], 0, v[6:7]
	global_load_dwordx2 v[22:23], v[6:7], off sc0 sc1
	s_waitcnt vmcnt(0)
	global_atomic_cmpswap_x2 v[6:7], v33, v[22:25], s[2:3] offset:24 sc0 sc1
	s_waitcnt vmcnt(0)
	buffer_inv sc0 sc1
	v_cmp_ne_u64_e32 vcc, v[6:7], v[24:25]
	s_and_saveexec_b64 s[12:13], vcc
	s_cbranch_execz .LBB3_343
; %bb.340:                              ;   in Loop: Header=BB3_282 Depth=1
	s_mov_b64 s[14:15], 0
.LBB3_341:                              ;   Parent Loop BB3_282 Depth=1
                                        ; =>  This Inner Loop Header: Depth=2
	s_sleep 1
	global_load_dwordx2 v[22:23], v33, s[2:3] offset:40
	global_load_dwordx2 v[34:35], v33, s[2:3]
	v_mov_b64_e32 v[24:25], v[6:7]
	s_waitcnt vmcnt(1)
	v_and_b32_e32 v6, v22, v24
	s_waitcnt vmcnt(0)
	v_mad_u64_u32 v[6:7], s[16:17], v6, 24, v[34:35]
	v_and_b32_e32 v23, v23, v25
	v_mov_b32_e32 v22, v7
	v_mad_u64_u32 v[22:23], s[16:17], v23, 24, v[22:23]
	v_mov_b32_e32 v7, v22
	global_load_dwordx2 v[22:23], v[6:7], off sc0 sc1
	s_waitcnt vmcnt(0)
	global_atomic_cmpswap_x2 v[6:7], v33, v[22:25], s[2:3] offset:24 sc0 sc1
	s_waitcnt vmcnt(0)
	buffer_inv sc0 sc1
	v_cmp_eq_u64_e32 vcc, v[6:7], v[24:25]
	s_or_b64 s[14:15], vcc, s[14:15]
	s_andn2_b64 exec, exec, s[14:15]
	s_cbranch_execnz .LBB3_341
; %bb.342:                              ;   in Loop: Header=BB3_282 Depth=1
	s_or_b64 exec, exec, s[14:15]
.LBB3_343:                              ;   in Loop: Header=BB3_282 Depth=1
	s_or_b64 exec, exec, s[12:13]
.LBB3_344:                              ;   in Loop: Header=BB3_282 Depth=1
	s_or_b64 exec, exec, s[10:11]
	global_load_dwordx2 v[34:35], v33, s[2:3] offset:40
	global_load_dwordx4 v[22:25], v33, s[2:3]
	v_readfirstlane_b32 s10, v6
	v_readfirstlane_b32 s11, v7
	s_mov_b64 s[12:13], exec
	s_waitcnt vmcnt(1)
	v_readfirstlane_b32 s14, v34
	v_readfirstlane_b32 s15, v35
	s_and_b64 s[14:15], s[10:11], s[14:15]
	s_mul_i32 s16, s15, 24
	s_mul_hi_u32 s17, s14, 24
	s_add_i32 s17, s17, s16
	s_mul_i32 s16, s14, 24
	s_waitcnt vmcnt(0)
	v_lshl_add_u64 v[34:35], v[22:23], 0, s[16:17]
	s_and_saveexec_b64 s[16:17], s[0:1]
	s_cbranch_execz .LBB3_346
; %bb.345:                              ;   in Loop: Header=BB3_282 Depth=1
	v_mov_b64_e32 v[6:7], s[12:13]
	global_store_dwordx4 v[34:35], v[6:9], off offset:8
.LBB3_346:                              ;   in Loop: Header=BB3_282 Depth=1
	s_or_b64 exec, exec, s[16:17]
	s_lshl_b64 s[12:13], s[14:15], 12
	v_lshl_add_u64 v[6:7], v[24:25], 0, s[12:13]
	v_or_b32_e32 v24, 0, v1
	v_cmp_lt_u64_e32 vcc, 56, v[26:27]
	v_or_b32_e32 v25, v0, v28
	v_readfirstlane_b32 s12, v6
	v_cndmask_b32_e32 v1, v24, v1, vcc
	v_lshl_add_u32 v24, v30, 2, 28
	v_cndmask_b32_e32 v0, v25, v0, vcc
	v_and_b32_e32 v24, 0x1e0, v24
	v_and_or_b32 v0, v0, s19, v24
	v_readfirstlane_b32 s13, v7
	s_nop 4
	global_store_dwordx4 v32, v[0:3], s[12:13]
	global_store_dwordx4 v32, v[10:13], s[12:13] offset:16
	global_store_dwordx4 v32, v[14:17], s[12:13] offset:32
	;; [unrolled: 1-line block ×3, first 2 shown]
	s_and_saveexec_b64 s[12:13], s[0:1]
	s_cbranch_execz .LBB3_354
; %bb.347:                              ;   in Loop: Header=BB3_282 Depth=1
	global_load_dwordx2 v[14:15], v33, s[2:3] offset:32 sc0 sc1
	global_load_dwordx2 v[0:1], v33, s[2:3] offset:40
	v_mov_b32_e32 v12, s10
	v_mov_b32_e32 v13, s11
	s_waitcnt vmcnt(0)
	v_readfirstlane_b32 s14, v0
	v_readfirstlane_b32 s15, v1
	s_and_b64 s[14:15], s[14:15], s[10:11]
	s_mul_i32 s15, s15, 24
	s_mul_hi_u32 s16, s14, 24
	s_mul_i32 s14, s14, 24
	s_add_i32 s15, s16, s15
	v_lshl_add_u64 v[10:11], v[22:23], 0, s[14:15]
	global_store_dwordx2 v[10:11], v[14:15], off
	buffer_wbl2 sc0 sc1
	s_waitcnt vmcnt(0)
	global_atomic_cmpswap_x2 v[2:3], v33, v[12:15], s[2:3] offset:32 sc0 sc1
	s_waitcnt vmcnt(0)
	v_cmp_ne_u64_e32 vcc, v[2:3], v[14:15]
	s_and_saveexec_b64 s[14:15], vcc
	s_cbranch_execz .LBB3_350
; %bb.348:                              ;   in Loop: Header=BB3_282 Depth=1
	s_mov_b64 s[16:17], 0
.LBB3_349:                              ;   Parent Loop BB3_282 Depth=1
                                        ; =>  This Inner Loop Header: Depth=2
	s_sleep 1
	global_store_dwordx2 v[10:11], v[2:3], off
	v_mov_b32_e32 v0, s10
	v_mov_b32_e32 v1, s11
	buffer_wbl2 sc0 sc1
	s_waitcnt vmcnt(0)
	global_atomic_cmpswap_x2 v[0:1], v33, v[0:3], s[2:3] offset:32 sc0 sc1
	s_waitcnt vmcnt(0)
	v_cmp_eq_u64_e32 vcc, v[0:1], v[2:3]
	s_or_b64 s[16:17], vcc, s[16:17]
	v_mov_b64_e32 v[2:3], v[0:1]
	s_andn2_b64 exec, exec, s[16:17]
	s_cbranch_execnz .LBB3_349
.LBB3_350:                              ;   in Loop: Header=BB3_282 Depth=1
	s_or_b64 exec, exec, s[14:15]
	global_load_dwordx2 v[0:1], v33, s[2:3] offset:16
	s_mov_b64 s[16:17], exec
	v_mbcnt_lo_u32_b32 v2, s16, 0
	v_mbcnt_hi_u32_b32 v2, s17, v2
	v_cmp_eq_u32_e32 vcc, 0, v2
	s_and_saveexec_b64 s[14:15], vcc
	s_cbranch_execz .LBB3_352
; %bb.351:                              ;   in Loop: Header=BB3_282 Depth=1
	s_bcnt1_i32_b64 s16, s[16:17]
	v_mov_b32_e32 v2, s16
	v_mov_b32_e32 v3, v33
	buffer_wbl2 sc0 sc1
	s_waitcnt vmcnt(0)
	global_atomic_add_x2 v[0:1], v[2:3], off offset:8 sc1
.LBB3_352:                              ;   in Loop: Header=BB3_282 Depth=1
	s_or_b64 exec, exec, s[14:15]
	s_waitcnt vmcnt(0)
	global_load_dwordx2 v[2:3], v[0:1], off offset:16
	s_waitcnt vmcnt(0)
	v_cmp_eq_u64_e32 vcc, 0, v[2:3]
	s_cbranch_vccnz .LBB3_354
; %bb.353:                              ;   in Loop: Header=BB3_282 Depth=1
	global_load_dword v0, v[0:1], off offset:24
	v_mov_b32_e32 v1, v33
	buffer_wbl2 sc0 sc1
	s_waitcnt vmcnt(0)
	global_store_dwordx2 v[2:3], v[0:1], off sc0 sc1
	v_and_b32_e32 v0, 0xffffff, v0
	s_nop 0
	v_readfirstlane_b32 m0, v0
	s_sendmsg sendmsg(MSG_INTERRUPT)
.LBB3_354:                              ;   in Loop: Header=BB3_282 Depth=1
	s_or_b64 exec, exec, s[12:13]
	v_lshl_add_u64 v[0:1], v[6:7], 0, v[32:33]
	s_branch .LBB3_358
.LBB3_355:                              ;   in Loop: Header=BB3_358 Depth=2
	s_or_b64 exec, exec, s[12:13]
	v_readfirstlane_b32 s12, v2
	s_cmp_eq_u32 s12, 0
	s_cbranch_scc1 .LBB3_357
; %bb.356:                              ;   in Loop: Header=BB3_358 Depth=2
	s_sleep 1
	s_cbranch_execnz .LBB3_358
	s_branch .LBB3_360
.LBB3_357:                              ;   in Loop: Header=BB3_282 Depth=1
	s_branch .LBB3_360
.LBB3_358:                              ;   Parent Loop BB3_282 Depth=1
                                        ; =>  This Inner Loop Header: Depth=2
	v_mov_b32_e32 v2, 1
	s_and_saveexec_b64 s[12:13], s[0:1]
	s_cbranch_execz .LBB3_355
; %bb.359:                              ;   in Loop: Header=BB3_358 Depth=2
	global_load_dword v2, v[34:35], off offset:20 sc0 sc1
	s_waitcnt vmcnt(0)
	buffer_inv sc0 sc1
	v_and_b32_e32 v2, 1, v2
	s_branch .LBB3_355
.LBB3_360:                              ;   in Loop: Header=BB3_282 Depth=1
	global_load_dwordx4 v[0:3], v[0:1], off
	s_and_saveexec_b64 s[12:13], s[0:1]
	s_cbranch_execz .LBB3_281
; %bb.361:                              ;   in Loop: Header=BB3_282 Depth=1
	global_load_dwordx2 v[2:3], v33, s[2:3] offset:40
	global_load_dwordx2 v[6:7], v33, s[2:3] offset:24 sc0 sc1
	global_load_dwordx2 v[14:15], v33, s[2:3]
	s_waitcnt vmcnt(2)
	v_lshl_add_u64 v[10:11], v[2:3], 0, 1
	v_lshl_add_u64 v[16:17], v[10:11], 0, s[10:11]
	v_cmp_eq_u64_e32 vcc, 0, v[16:17]
	s_waitcnt vmcnt(1)
	v_mov_b32_e32 v12, v6
	v_cndmask_b32_e32 v11, v17, v11, vcc
	v_cndmask_b32_e32 v10, v16, v10, vcc
	v_and_b32_e32 v3, v11, v3
	v_and_b32_e32 v2, v10, v2
	v_mul_lo_u32 v3, v3, 24
	v_mul_hi_u32 v13, v2, 24
	v_mul_lo_u32 v2, v2, 24
	v_add_u32_e32 v3, v13, v3
	s_waitcnt vmcnt(0)
	v_lshl_add_u64 v[2:3], v[14:15], 0, v[2:3]
	global_store_dwordx2 v[2:3], v[6:7], off
	v_mov_b32_e32 v13, v7
	buffer_wbl2 sc0 sc1
	s_waitcnt vmcnt(0)
	global_atomic_cmpswap_x2 v[12:13], v33, v[10:13], s[2:3] offset:24 sc0 sc1
	s_waitcnt vmcnt(0)
	v_cmp_ne_u64_e32 vcc, v[12:13], v[6:7]
	s_and_b64 exec, exec, vcc
	s_cbranch_execz .LBB3_281
; %bb.362:                              ;   in Loop: Header=BB3_282 Depth=1
	s_mov_b64 s[0:1], 0
.LBB3_363:                              ;   Parent Loop BB3_282 Depth=1
                                        ; =>  This Inner Loop Header: Depth=2
	s_sleep 1
	global_store_dwordx2 v[2:3], v[12:13], off
	buffer_wbl2 sc0 sc1
	s_waitcnt vmcnt(0)
	global_atomic_cmpswap_x2 v[6:7], v33, v[10:13], s[2:3] offset:24 sc0 sc1
	s_waitcnt vmcnt(0)
	v_cmp_eq_u64_e32 vcc, v[6:7], v[12:13]
	s_or_b64 s[0:1], vcc, s[0:1]
	v_mov_b64_e32 v[12:13], v[6:7]
	s_andn2_b64 exec, exec, s[0:1]
	s_cbranch_execnz .LBB3_363
	s_branch .LBB3_281
.LBB3_364:
	s_or_b64 exec, exec, s[4:5]
                                        ; implicit-def: $vgpr32
                                        ; implicit-def: $vgpr38
.LBB3_365:
	s_andn2_saveexec_b64 s[4:5], s[6:7]
	s_cbranch_execz .LBB3_392
; %bb.366:
	v_readfirstlane_b32 s0, v38
	s_waitcnt vmcnt(0)
	v_mov_b64_e32 v[2:3], 0
	v_cmp_eq_u32_e64 s[0:1], s0, v38
	s_and_saveexec_b64 s[6:7], s[0:1]
	s_cbranch_execz .LBB3_372
; %bb.367:
	v_mov_b32_e32 v4, 0
	global_load_dwordx2 v[8:9], v4, s[2:3] offset:24 sc0 sc1
	s_waitcnt vmcnt(0)
	buffer_inv sc0 sc1
	global_load_dwordx2 v[2:3], v4, s[2:3] offset:40
	global_load_dwordx2 v[6:7], v4, s[2:3]
	s_waitcnt vmcnt(1)
	v_and_b32_e32 v2, v2, v8
	v_and_b32_e32 v3, v3, v9
	v_mul_lo_u32 v3, v3, 24
	v_mul_hi_u32 v5, v2, 24
	v_add_u32_e32 v3, v5, v3
	v_mul_lo_u32 v2, v2, 24
	s_waitcnt vmcnt(0)
	v_lshl_add_u64 v[2:3], v[6:7], 0, v[2:3]
	global_load_dwordx2 v[6:7], v[2:3], off sc0 sc1
	s_waitcnt vmcnt(0)
	global_atomic_cmpswap_x2 v[2:3], v4, v[6:9], s[2:3] offset:24 sc0 sc1
	s_waitcnt vmcnt(0)
	buffer_inv sc0 sc1
	v_cmp_ne_u64_e32 vcc, v[2:3], v[8:9]
	s_and_saveexec_b64 s[10:11], vcc
	s_cbranch_execz .LBB3_371
; %bb.368:
	s_mov_b64 s[12:13], 0
.LBB3_369:                              ; =>This Inner Loop Header: Depth=1
	s_sleep 1
	global_load_dwordx2 v[6:7], v4, s[2:3] offset:40
	global_load_dwordx2 v[10:11], v4, s[2:3]
	v_mov_b64_e32 v[8:9], v[2:3]
	s_waitcnt vmcnt(1)
	v_and_b32_e32 v2, v6, v8
	s_waitcnt vmcnt(0)
	v_mad_u64_u32 v[2:3], s[14:15], v2, 24, v[10:11]
	v_and_b32_e32 v5, v7, v9
	v_mov_b32_e32 v6, v3
	v_mad_u64_u32 v[6:7], s[14:15], v5, 24, v[6:7]
	v_mov_b32_e32 v3, v6
	global_load_dwordx2 v[6:7], v[2:3], off sc0 sc1
	s_waitcnt vmcnt(0)
	global_atomic_cmpswap_x2 v[2:3], v4, v[6:9], s[2:3] offset:24 sc0 sc1
	s_waitcnt vmcnt(0)
	buffer_inv sc0 sc1
	v_cmp_eq_u64_e32 vcc, v[2:3], v[8:9]
	s_or_b64 s[12:13], vcc, s[12:13]
	s_andn2_b64 exec, exec, s[12:13]
	s_cbranch_execnz .LBB3_369
; %bb.370:
	s_or_b64 exec, exec, s[12:13]
.LBB3_371:
	s_or_b64 exec, exec, s[10:11]
.LBB3_372:
	s_or_b64 exec, exec, s[6:7]
	v_mov_b32_e32 v33, 0
	global_load_dwordx2 v[8:9], v33, s[2:3] offset:40
	global_load_dwordx4 v[4:7], v33, s[2:3]
	v_readfirstlane_b32 s6, v2
	v_readfirstlane_b32 s7, v3
	s_mov_b64 s[10:11], exec
	s_waitcnt vmcnt(1)
	v_readfirstlane_b32 s12, v8
	v_readfirstlane_b32 s13, v9
	s_and_b64 s[12:13], s[6:7], s[12:13]
	s_mul_i32 s14, s13, 24
	s_mul_hi_u32 s15, s12, 24
	s_add_i32 s15, s15, s14
	s_mul_i32 s14, s12, 24
	s_waitcnt vmcnt(0)
	v_lshl_add_u64 v[8:9], v[4:5], 0, s[14:15]
	s_and_saveexec_b64 s[14:15], s[0:1]
	s_cbranch_execz .LBB3_374
; %bb.373:
	v_mov_b64_e32 v[10:11], s[10:11]
	v_mov_b32_e32 v12, 2
	v_mov_b32_e32 v13, 1
	global_store_dwordx4 v[8:9], v[10:13], off offset:8
.LBB3_374:
	s_or_b64 exec, exec, s[14:15]
	s_lshl_b64 s[10:11], s[12:13], 12
	v_lshl_add_u64 v[6:7], v[6:7], 0, s[10:11]
	s_movk_i32 s10, 0xff1f
	s_mov_b32 s12, 0
	v_and_or_b32 v0, v0, s10, 32
	v_mov_b32_e32 v2, v33
	v_mov_b32_e32 v3, v33
	v_readfirstlane_b32 s10, v6
	v_readfirstlane_b32 s11, v7
	s_mov_b32 s13, s12
	s_mov_b32 s14, s12
	;; [unrolled: 1-line block ×3, first 2 shown]
	s_nop 1
	global_store_dwordx4 v32, v[0:3], s[10:11]
	s_nop 1
	v_mov_b64_e32 v[0:1], s[12:13]
	v_mov_b64_e32 v[2:3], s[14:15]
	global_store_dwordx4 v32, v[0:3], s[10:11] offset:16
	global_store_dwordx4 v32, v[0:3], s[10:11] offset:32
	;; [unrolled: 1-line block ×3, first 2 shown]
	s_and_saveexec_b64 s[10:11], s[0:1]
	s_cbranch_execz .LBB3_382
; %bb.375:
	v_mov_b32_e32 v10, 0
	global_load_dwordx2 v[14:15], v10, s[2:3] offset:32 sc0 sc1
	global_load_dwordx2 v[0:1], v10, s[2:3] offset:40
	v_mov_b32_e32 v12, s6
	v_mov_b32_e32 v13, s7
	s_waitcnt vmcnt(0)
	v_readfirstlane_b32 s12, v0
	v_readfirstlane_b32 s13, v1
	s_and_b64 s[12:13], s[12:13], s[6:7]
	s_mul_i32 s13, s13, 24
	s_mul_hi_u32 s14, s12, 24
	s_mul_i32 s12, s12, 24
	s_add_i32 s13, s14, s13
	v_lshl_add_u64 v[4:5], v[4:5], 0, s[12:13]
	global_store_dwordx2 v[4:5], v[14:15], off
	buffer_wbl2 sc0 sc1
	s_waitcnt vmcnt(0)
	global_atomic_cmpswap_x2 v[2:3], v10, v[12:15], s[2:3] offset:32 sc0 sc1
	s_waitcnt vmcnt(0)
	v_cmp_ne_u64_e32 vcc, v[2:3], v[14:15]
	s_and_saveexec_b64 s[12:13], vcc
	s_cbranch_execz .LBB3_378
; %bb.376:
	s_mov_b64 s[14:15], 0
.LBB3_377:                              ; =>This Inner Loop Header: Depth=1
	s_sleep 1
	global_store_dwordx2 v[4:5], v[2:3], off
	v_mov_b32_e32 v0, s6
	v_mov_b32_e32 v1, s7
	buffer_wbl2 sc0 sc1
	s_waitcnt vmcnt(0)
	global_atomic_cmpswap_x2 v[0:1], v10, v[0:3], s[2:3] offset:32 sc0 sc1
	s_waitcnt vmcnt(0)
	v_cmp_eq_u64_e32 vcc, v[0:1], v[2:3]
	s_or_b64 s[14:15], vcc, s[14:15]
	v_mov_b64_e32 v[2:3], v[0:1]
	s_andn2_b64 exec, exec, s[14:15]
	s_cbranch_execnz .LBB3_377
.LBB3_378:
	s_or_b64 exec, exec, s[12:13]
	v_mov_b32_e32 v3, 0
	global_load_dwordx2 v[0:1], v3, s[2:3] offset:16
	s_mov_b64 s[12:13], exec
	v_mbcnt_lo_u32_b32 v2, s12, 0
	v_mbcnt_hi_u32_b32 v2, s13, v2
	v_cmp_eq_u32_e32 vcc, 0, v2
	s_and_saveexec_b64 s[14:15], vcc
	s_cbranch_execz .LBB3_380
; %bb.379:
	s_bcnt1_i32_b64 s12, s[12:13]
	v_mov_b32_e32 v2, s12
	buffer_wbl2 sc0 sc1
	s_waitcnt vmcnt(0)
	global_atomic_add_x2 v[0:1], v[2:3], off offset:8 sc1
.LBB3_380:
	s_or_b64 exec, exec, s[14:15]
	s_waitcnt vmcnt(0)
	global_load_dwordx2 v[2:3], v[0:1], off offset:16
	s_waitcnt vmcnt(0)
	v_cmp_eq_u64_e32 vcc, 0, v[2:3]
	s_cbranch_vccnz .LBB3_382
; %bb.381:
	global_load_dword v0, v[0:1], off offset:24
	v_mov_b32_e32 v1, 0
	buffer_wbl2 sc0 sc1
	s_waitcnt vmcnt(0)
	global_store_dwordx2 v[2:3], v[0:1], off sc0 sc1
	v_and_b32_e32 v0, 0xffffff, v0
	s_nop 0
	v_readfirstlane_b32 m0, v0
	s_sendmsg sendmsg(MSG_INTERRUPT)
.LBB3_382:
	s_or_b64 exec, exec, s[10:11]
	v_lshl_add_u64 v[0:1], v[6:7], 0, v[32:33]
	s_branch .LBB3_386
.LBB3_383:                              ;   in Loop: Header=BB3_386 Depth=1
	s_or_b64 exec, exec, s[10:11]
	v_readfirstlane_b32 s10, v2
	s_cmp_eq_u32 s10, 0
	s_cbranch_scc1 .LBB3_385
; %bb.384:                              ;   in Loop: Header=BB3_386 Depth=1
	s_sleep 1
	s_cbranch_execnz .LBB3_386
	s_branch .LBB3_388
.LBB3_385:
	s_branch .LBB3_388
.LBB3_386:                              ; =>This Inner Loop Header: Depth=1
	v_mov_b32_e32 v2, 1
	s_and_saveexec_b64 s[10:11], s[0:1]
	s_cbranch_execz .LBB3_383
; %bb.387:                              ;   in Loop: Header=BB3_386 Depth=1
	global_load_dword v2, v[8:9], off offset:20 sc0 sc1
	s_waitcnt vmcnt(0)
	buffer_inv sc0 sc1
	v_and_b32_e32 v2, 1, v2
	s_branch .LBB3_383
.LBB3_388:
	global_load_dwordx2 v[0:1], v[0:1], off
	s_and_saveexec_b64 s[10:11], s[0:1]
	s_cbranch_execz .LBB3_391
; %bb.389:
	v_mov_b32_e32 v8, 0
	global_load_dwordx2 v[6:7], v8, s[2:3] offset:40
	global_load_dwordx2 v[10:11], v8, s[2:3] offset:24 sc0 sc1
	global_load_dwordx2 v[12:13], v8, s[2:3]
	s_mov_b64 s[0:1], 0
	s_waitcnt vmcnt(2)
	v_lshl_add_u64 v[2:3], v[6:7], 0, 1
	v_lshl_add_u64 v[14:15], v[2:3], 0, s[6:7]
	v_cmp_eq_u64_e32 vcc, 0, v[14:15]
	s_waitcnt vmcnt(1)
	v_mov_b32_e32 v4, v10
	v_cndmask_b32_e32 v3, v15, v3, vcc
	v_cndmask_b32_e32 v2, v14, v2, vcc
	v_and_b32_e32 v5, v3, v7
	v_and_b32_e32 v6, v2, v6
	v_mul_lo_u32 v5, v5, 24
	v_mul_hi_u32 v7, v6, 24
	v_mul_lo_u32 v6, v6, 24
	v_add_u32_e32 v7, v7, v5
	s_waitcnt vmcnt(0)
	v_lshl_add_u64 v[6:7], v[12:13], 0, v[6:7]
	global_store_dwordx2 v[6:7], v[10:11], off
	v_mov_b32_e32 v5, v11
	buffer_wbl2 sc0 sc1
	s_waitcnt vmcnt(0)
	global_atomic_cmpswap_x2 v[4:5], v8, v[2:5], s[2:3] offset:24 sc0 sc1
	s_waitcnt vmcnt(0)
	v_cmp_ne_u64_e32 vcc, v[4:5], v[10:11]
	s_and_b64 exec, exec, vcc
	s_cbranch_execz .LBB3_391
.LBB3_390:                              ; =>This Inner Loop Header: Depth=1
	s_sleep 1
	global_store_dwordx2 v[6:7], v[4:5], off
	buffer_wbl2 sc0 sc1
	s_waitcnt vmcnt(0)
	global_atomic_cmpswap_x2 v[10:11], v8, v[2:5], s[2:3] offset:24 sc0 sc1
	s_waitcnt vmcnt(0)
	v_cmp_eq_u64_e32 vcc, v[10:11], v[4:5]
	s_or_b64 s[0:1], vcc, s[0:1]
	v_mov_b64_e32 v[4:5], v[10:11]
	s_andn2_b64 exec, exec, s[0:1]
	s_cbranch_execnz .LBB3_390
.LBB3_391:
	s_or_b64 exec, exec, s[10:11]
.LBB3_392:
	s_or_b64 exec, exec, s[4:5]
	s_getpc_b64 s[0:1]
	s_add_u32 s0, s0, .str.1@rel32@lo+4
	s_addc_u32 s1, s1, .str.1@rel32@hi+12
	s_getpc_b64 s[2:3]
	s_add_u32 s2, s2, .str.1@rel32@lo+32
	s_addc_u32 s3, s3, .str.1@rel32@hi+40
	s_sub_i32 s4, s2, s0
	s_ashr_i32 s5, s4, 31
	s_waitcnt vmcnt(0)
	v_mov_b32_e32 v2, s0
	v_mov_b32_e32 v3, s1
	;; [unrolled: 1-line block ×5, first 2 shown]
	s_getpc_b64 s[2:3]
	s_add_u32 s2, s2, __ockl_fprintf_append_string_n@rel32@lo+4
	s_addc_u32 s3, s3, __ockl_fprintf_append_string_n@rel32@hi+12
	s_swappc_b64 s[30:31], s[2:3]
	s_trap 2
.Lfunc_end3:
	.size	__assert_fail, .Lfunc_end3-__assert_fail
                                        ; -- End function
	.section	.AMDGPU.csdata,"",@progbits
; Function info:
; codeLenInByte = 14360
; NumSgprs: 40
; NumVgprs: 40
; NumAgprs: 0
; TotalNumVgprs: 40
; ScratchSize: 64
; MemoryBound: 0
	.text
	.p2align	2                               ; -- Begin function _ZN12_GLOBAL__N_17runRingIa7FuncSumIaE11ProtoSimpleILi1ELi1ELi0ELi1ELi0ELi0EELi0ELi1ELi0EEEviiP15ncclDevWorkColl
	.type	_ZN12_GLOBAL__N_17runRingIa7FuncSumIaE11ProtoSimpleILi1ELi1ELi0ELi1ELi0ELi0EELi0ELi1ELi0EEEviiP15ncclDevWorkColl,@function
_ZN12_GLOBAL__N_17runRingIa7FuncSumIaE11ProtoSimpleILi1ELi1ELi0ELi1ELi0ELi0EELi0ELi1ELi0EEEviiP15ncclDevWorkColl: ; @_ZN12_GLOBAL__N_17runRingIa7FuncSumIaE11ProtoSimpleILi1ELi1ELi0ELi1ELi0ELi0EELi0ELi1ELi0EEEviiP15ncclDevWorkColl
; %bb.0:
	s_waitcnt vmcnt(0) expcnt(0) lgkmcnt(0)
	s_mov_b32 s0, s33
	s_mov_b32 s33, s32
	s_or_saveexec_b64 s[2:3], -1
	scratch_store_dword off, v63, s33 offset:20 ; 4-byte Folded Spill
	s_mov_b64 exec, s[2:3]
	v_writelane_b32 v63, s0, 53
	v_accvgpr_write_b32 a22, v40            ;  Reload Reuse
	s_add_i32 s32, s32, 32
	v_accvgpr_write_b32 a23, v41            ;  Reload Reuse
	v_accvgpr_write_b32 a24, v42            ;  Reload Reuse
	;; [unrolled: 1-line block ×9, first 2 shown]
	scratch_store_dword off, v58, s33 offset:16 ; 4-byte Folded Spill
	scratch_store_dword off, v59, s33 offset:12 ; 4-byte Folded Spill
	;; [unrolled: 1-line block ×4, first 2 shown]
	scratch_store_dword off, v62, s33       ; 4-byte Folded Spill
	v_writelane_b32 v63, s34, 0
	v_writelane_b32 v63, s35, 1
	;; [unrolled: 1-line block ×52, first 2 shown]
	s_nop 1
	v_writelane_b32 v63, s31, 52
	s_trap 2
	ds_read_b64 v[4:5], v0
	flat_load_ushort v9, v[2:3] offset:8
	flat_load_dwordx2 v[16:17], v[2:3]
	ds_read_b32 v6, v0
                                        ; implicit-def: $vgpr36_vgpr37
                                        ; implicit-def: $vgpr14_vgpr15
	s_waitcnt lgkmcnt(0)
	flat_load_dwordx2 v[34:35], v[4:5]
                                        ; implicit-def: $vgpr4_vgpr5
	s_waitcnt vmcnt(0)
	v_mov_b32_e32 v8, v17
	v_cmp_ne_u32_sdwa s[0:1], v16, v6 src0_sel:BYTE_0 src1_sel:DWORD
	s_and_saveexec_b64 s[2:3], s[0:1]
	s_xor_b64 s[0:1], exec, s[2:3]
	s_cbranch_execz .LBB4_6
; %bb.1:
	v_not_b32_sdwa v10, v16 dst_sel:DWORD dst_unused:UNUSED_PAD src0_sel:BYTE_0
	v_cmp_ne_u32_sdwa s[2:3], v16, v6 src0_sel:BYTE_1 src1_sel:DWORD
                                        ; implicit-def: $vgpr36_vgpr37
                                        ; implicit-def: $vgpr4_vgpr5
                                        ; implicit-def: $vgpr14_vgpr15
	s_and_saveexec_b64 s[4:5], s[2:3]
	s_xor_b64 s[2:3], exec, s[4:5]
	s_cbranch_execz .LBB4_3
; %bb.2:
	flat_load_dwordx4 v[18:21], v[2:3] offset:72
	flat_load_dwordx2 v[4:5], v[2:3] offset:96
	v_add_u32_e32 v6, v6, v10
	v_ashrrev_i32_e32 v7, 31, v6
                                        ; implicit-def: $vgpr10
	s_waitcnt vmcnt(0) lgkmcnt(0)
	v_mul_lo_u32 v7, v20, v7
	v_mad_u64_u32 v[14:15], s[4:5], v20, v6, v[18:19]
	v_mul_lo_u32 v6, v21, v6
	v_lshrrev_b64 v[36:37], 21, v[4:5]
	v_add3_u32 v15, v6, v15, v7
	v_mov_b64_e32 v[4:5], v[20:21]
.LBB4_3:
	s_andn2_saveexec_b64 s[2:3], s[2:3]
	s_cbranch_execz .LBB4_5
; %bb.4:
	flat_load_dwordx4 v[18:21], v[2:3] offset:72
	flat_load_dwordx4 v[4:7], v[2:3] offset:88
	s_waitcnt vmcnt(0) lgkmcnt(0)
	v_add_u32_sdwa v6, v16, v10 dst_sel:DWORD dst_unused:UNUSED_PAD src0_sel:BYTE_1 src1_sel:DWORD
	v_ashrrev_i32_e32 v10, 31, v6
	v_mul_lo_u32 v10, v20, v10
	v_mad_u64_u32 v[14:15], s[4:5], v20, v6, v[18:19]
	v_mul_lo_u32 v6, v21, v6
	v_add3_u32 v15, v6, v15, v10
	v_lshrrev_b32_e32 v36, 10, v7
.LBB4_5:
	s_or_b64 exec, exec, s[2:3]
.LBB4_6:
	s_andn2_saveexec_b64 s[0:1], s[0:1]
	s_cbranch_execz .LBB4_8
; %bb.7:
	flat_load_dwordx2 v[4:5], v[2:3] offset:72
	flat_load_dwordx2 v[36:37], v[2:3] offset:96
	v_mov_b64_e32 v[14:15], 0
.LBB4_8:
	s_or_b64 exec, exec, s[0:1]
	flat_load_dwordx4 v[10:13], v[2:3] offset:16
	s_brev_b32 s0, 34
	v_and_b32_e32 v6, 0x44000000, v16
	v_cmp_eq_u32_e64 s[16:17], s0, v6
	s_waitcnt vmcnt(0) lgkmcnt(0)
	v_bfe_u32 v37, v8, 1, 30
	v_cndmask_b32_e64 v23, v1, 64, s[16:17]
	v_cmp_ge_i32_e32 vcc, v0, v23
	s_and_saveexec_b64 s[0:1], vcc
	s_xor_b64 s[2:3], exec, s[0:1]
	s_cbranch_execz .LBB4_40
; %bb.9:
	v_cmp_ne_u64_e32 vcc, v[12:13], v[10:11]
	v_cmp_eq_u32_e64 s[0:1], v34, v37
	s_and_b64 s[4:5], vcc, s[0:1]
	s_and_saveexec_b64 s[0:1], s[4:5]
	s_cbranch_execz .LBB4_39
; %bb.10:
	v_sub_u32_e32 v25, v0, v23
	v_ashrrev_i32_e32 v0, 31, v25
	v_lshrrev_b32_e32 v0, 26, v0
	v_add_u32_e32 v0, v25, v0
	v_and_b32_e32 v2, 0xffffffc0, v0
	v_sub_u32_e32 v22, v25, v2
	v_cmp_gt_i32_e32 vcc, 1, v22
	v_mov_b32_e32 v2, 0
	s_and_saveexec_b64 s[4:5], vcc
; %bb.11:
	v_add_u32_e32 v2, v12, v14
	v_add_u32_e32 v3, v10, v14
	v_or_b32_e32 v2, v2, v3
	v_and_b32_e32 v2, 15, v2
	v_cmp_ne_u32_e32 vcc, 0, v2
	s_nop 1
	v_cndmask_b32_e64 v2, 0, 1, vcc
; %bb.12:
	s_or_b64 exec, exec, s[4:5]
	v_ashrrev_i32_e32 v26, 6, v0
	v_sub_u32_e32 v24, v1, v23
	;;#ASMSTART
	;;#ASMEND
	s_nop 0
	v_cmp_ne_u32_e32 vcc, 0, v2
	s_cbranch_vccz .LBB4_14
; %bb.13:
	s_mov_b64 s[6:7], -1
	v_mov_b64_e32 v[0:1], 0
	s_and_b64 exec, exec, s[6:7]
	s_cbranch_execnz .LBB4_31
	s_branch .LBB4_39
.LBB4_14:
	v_ashrrev_i32_e32 v0, 31, v5
	v_lshrrev_b32_e32 v0, 21, v0
	v_mov_b32_e32 v1, 0
	v_lshl_add_u64 v[0:1], v[4:5], 0, v[0:1]
	v_ashrrev_i64 v[0:1], 11, v[0:1]
	v_ashrrev_i32_e32 v2, 31, v26
	v_sub_co_u32_e32 v8, vcc, v0, v26
	s_mov_b64 s[6:7], 0
	s_nop 0
	v_subb_co_u32_e32 v9, vcc, v1, v2, vcc
	v_cmp_lt_i64_e32 vcc, 0, v[8:9]
	s_and_saveexec_b64 s[4:5], vcc
	s_cbranch_execz .LBB4_18
; %bb.15:
	v_lshlrev_b32_e32 v2, 4, v22
	v_lshl_add_u32 v16, v26, 11, v2
	v_ashrrev_i32_e32 v2, 31, v24
	v_lshrrev_b32_e32 v2, 26, v2
	v_add_u32_e32 v2, v24, v2
	v_ashrrev_i32_e32 v2, 6, v2
	v_mov_b32_e32 v3, 0xfffff800
	v_lshl_add_u32 v6, v2, 11, v3
	v_ashrrev_i32_e32 v17, 31, v16
	v_ashrrev_i32_e32 v7, 31, v6
	s_mov_b64 s[10:11], 0x800
	v_ashrrev_i32_e32 v3, 31, v2
	v_lshl_add_u64 v[6:7], v[6:7], 0, s[10:11]
	v_lshl_add_u64 v[16:17], v[14:15], 0, v[16:17]
.LBB4_16:                               ; =>This Inner Loop Header: Depth=1
	v_lshl_add_u64 v[30:31], v[12:13], 0, v[16:17]
	global_load_dwordx4 v[18:21], v[30:31], off nt
	global_load_dwordx4 v[26:29], v[30:31], off offset:1024 nt
	v_sub_co_u32_e32 v8, vcc, v8, v2
	v_lshl_add_u64 v[30:31], v[10:11], 0, v[16:17]
	s_nop 0
	v_subb_co_u32_e32 v9, vcc, v9, v3, vcc
	v_cmp_gt_i64_e32 vcc, 1, v[8:9]
	v_lshl_add_u64 v[16:17], v[16:17], 0, v[6:7]
	s_or_b64 s[6:7], vcc, s[6:7]
	s_waitcnt vmcnt(1)
	global_store_dwordx4 v[30:31], v[18:21], off nt
	s_waitcnt vmcnt(1)
	global_store_dwordx4 v[30:31], v[26:29], off offset:1024 nt
	s_andn2_b64 exec, exec, s[6:7]
	s_cbranch_execnz .LBB4_16
; %bb.17:
	s_or_b64 exec, exec, s[6:7]
.LBB4_18:
	s_or_b64 exec, exec, s[4:5]
	v_lshlrev_b64 v[16:17], 11, v[0:1]
	v_cmp_ne_u64_e32 vcc, v[4:5], v[16:17]
	s_mov_b64 s[6:7], 0
	v_mov_b64_e32 v[0:1], 0
                                        ; implicit-def: $vgpr25
                                        ; implicit-def: $vgpr26
	s_and_saveexec_b64 s[4:5], vcc
	s_cbranch_execz .LBB4_30
; %bb.19:
	v_sub_co_u32_e32 v0, vcc, v4, v16
	v_mov_b32_e32 v21, 0
	s_nop 0
	v_subb_co_u32_e32 v1, vcc, v5, v17, vcc
	v_ashrrev_i32_e32 v2, 31, v1
	v_lshrrev_b32_e32 v20, 22, v2
	v_lshl_add_u64 v[2:3], v[0:1], 0, v[20:21]
	v_ashrrev_i64 v[18:19], 10, v[2:3]
	v_and_b32_e32 v2, 0xfffffc00, v2
	v_lshl_add_u64 v[6:7], v[2:3], 0, v[16:17]
	v_sub_co_u32_e32 v2, vcc, v0, v2
	s_nop 1
	v_subb_co_u32_e32 v3, vcc, v1, v3, vcc
	v_cmp_lt_i64_e32 vcc, 15, v[2:3]
	s_and_saveexec_b64 s[6:7], vcc
; %bb.20:
	v_and_b32_e32 v20, 15, v4
	v_sub_co_u32_e32 v2, vcc, v2, v20
	v_lshl_add_u64 v[18:19], v[18:19], 0, 1
	s_nop 0
	v_subbrev_co_u32_e32 v3, vcc, 0, v3, vcc
	v_lshl_add_u64 v[6:7], v[2:3], 0, v[6:7]
	v_mov_b64_e32 v[2:3], v[20:21]
; %bb.21:
	s_or_b64 exec, exec, s[6:7]
	v_lshlrev_b32_e32 v4, 6, v8
	v_sub_u32_e32 v4, v22, v4
	v_ashrrev_i32_e32 v5, 31, v4
	v_lshrrev_b32_e32 v5, 26, v5
	v_add_u32_e32 v5, v4, v5
	v_ashrrev_i32_e32 v8, 6, v5
	v_and_b32_e32 v5, 0xffffffc0, v5
	v_sub_u32_e32 v27, v4, v5
	v_lshlrev_b32_e32 v4, 4, v27
	v_lshl_add_u32 v22, v8, 10, v4
	v_ashrrev_i32_e32 v23, 31, v22
	v_sub_co_u32_e32 v0, vcc, v0, v22
	v_ashrrev_i32_e32 v5, 31, v8
	s_nop 0
	v_subb_co_u32_e32 v1, vcc, v1, v23, vcc
	v_sub_co_u32_e32 v4, vcc, v18, v8
	s_nop 1
	v_subb_co_u32_e32 v5, vcc, v19, v5, vcc
	v_cmp_lt_i64_e32 vcc, 15, v[0:1]
	s_and_saveexec_b64 s[6:7], vcc
	s_cbranch_execz .LBB4_25
; %bb.22:
	v_ashrrev_i32_e32 v8, 31, v24
	v_lshrrev_b32_e32 v8, 26, v8
	v_add_u32_e32 v8, v24, v8
	v_ashrrev_i32_e32 v8, 6, v8
	v_lshlrev_b32_e32 v18, 10, v8
	v_add_u32_e32 v20, 0xfffffc00, v18
	v_ashrrev_i32_e32 v21, 31, v20
	s_mov_b64 s[10:11], 0x400
	v_lshl_add_u64 v[16:17], v[14:15], 0, v[16:17]
	v_lshl_add_u64 v[20:21], v[20:21], 0, s[10:11]
	v_ashrrev_i32_e32 v9, 31, v18
	v_ashrrev_i32_e32 v19, 31, v8
	v_lshl_add_u64 v[16:17], v[16:17], 0, v[22:23]
	s_mov_b64 s[10:11], 0
.LBB4_23:                               ; =>This Inner Loop Header: Depth=1
	v_lshl_add_u64 v[22:23], v[12:13], 0, v[16:17]
	global_load_dwordx4 v[28:31], v[22:23], off nt
	v_sub_co_u32_e32 v0, vcc, v0, v18
	v_lshl_add_u64 v[22:23], v[10:11], 0, v[16:17]
	s_nop 0
	v_subb_co_u32_e32 v1, vcc, v1, v9, vcc
	v_sub_co_u32_e32 v4, vcc, v4, v8
	v_lshl_add_u64 v[16:17], v[16:17], 0, v[20:21]
	s_nop 0
	v_subb_co_u32_e32 v5, vcc, v5, v19, vcc
	v_cmp_gt_i64_e32 vcc, 16, v[0:1]
	s_or_b64 s[10:11], vcc, s[10:11]
	s_waitcnt vmcnt(0)
	global_store_dwordx4 v[22:23], v[28:31], off nt
	s_andn2_b64 exec, exec, s[10:11]
	s_cbranch_execnz .LBB4_23
; %bb.24:
	s_or_b64 exec, exec, s[10:11]
.LBB4_25:
	s_or_b64 exec, exec, s[6:7]
	s_mov_b64 s[6:7], 0
	v_cmp_lt_i64_e32 vcc, 0, v[4:5]
	s_and_saveexec_b64 s[10:11], vcc
; %bb.26:
	v_ashrrev_i32_e32 v0, 31, v24
	v_lshrrev_b32_e32 v0, 26, v0
	v_add_u32_e32 v0, v24, v0
	v_ashrrev_i32_e32 v0, 6, v0
	v_sub_co_u32_e32 v4, vcc, v4, v0
; %bb.27:
	s_or_b64 exec, exec, s[10:11]
	v_cmp_ne_u64_e32 vcc, 0, v[2:3]
	v_mov_b64_e32 v[0:1], 0
                                        ; implicit-def: $vgpr25
                                        ; implicit-def: $vgpr26
	s_and_saveexec_b64 s[10:11], vcc
; %bb.28:
	v_lshlrev_b32_e32 v0, 6, v4
	v_sub_u32_e32 v25, v27, v0
	v_ashrrev_i32_e32 v0, 31, v25
	v_lshrrev_b32_e32 v0, 26, v0
	v_add_u32_e32 v0, v25, v0
	s_mov_b64 s[6:7], exec
	v_ashrrev_i32_e32 v26, 6, v0
	v_mov_b64_e32 v[0:1], v[6:7]
; %bb.29:
	s_or_b64 exec, exec, s[10:11]
	s_and_b64 s[6:7], s[6:7], exec
	v_mov_b64_e32 v[4:5], v[2:3]
.LBB4_30:
	s_or_b64 exec, exec, s[4:5]
	s_and_b64 exec, exec, s[6:7]
	s_cbranch_execz .LBB4_39
.LBB4_31:
	v_ashrrev_i32_e32 v2, 31, v5
	v_lshrrev_b32_e32 v2, 23, v2
	v_mov_b32_e32 v3, 0
	v_lshl_add_u64 v[2:3], v[4:5], 0, v[2:3]
	v_ashrrev_i64 v[6:7], 9, v[2:3]
	v_ashrrev_i32_e32 v3, 31, v26
	v_sub_co_u32_e32 v2, vcc, v6, v26
	s_mov_b64 s[6:7], 0
	s_nop 0
	v_subb_co_u32_e32 v3, vcc, v7, v3, vcc
	v_cmp_lt_i64_e32 vcc, 0, v[2:3]
	s_and_saveexec_b64 s[4:5], vcc
	s_cbranch_execz .LBB4_35
; %bb.32:
	v_ashrrev_i32_e32 v8, 31, v25
	v_ashrrev_i32_e32 v16, 31, v24
	v_lshrrev_b32_e32 v8, 26, v8
	v_lshrrev_b32_e32 v16, 26, v16
	v_add_u32_e32 v8, v25, v8
	v_add_u32_e32 v16, v24, v16
	v_and_b32_e32 v8, 0xffffffc0, v8
	v_ashrrev_i32_e32 v16, 6, v16
	v_mov_b32_e32 v17, 0xfffffe00
	v_sub_u32_e32 v8, v25, v8
	v_lshl_add_u32 v18, v16, 9, v17
	v_lshl_add_u32 v8, v26, 9, v8
	v_ashrrev_i32_e32 v19, 31, v18
	s_mov_b64 s[10:11], 0x200
	v_lshl_add_u64 v[22:23], v[14:15], 0, v[0:1]
	v_ashrrev_i32_e32 v9, 31, v8
	v_ashrrev_i32_e32 v17, 31, v16
	v_lshl_add_u64 v[18:19], v[18:19], 0, s[10:11]
	v_lshl_add_u64 v[20:21], v[22:23], 0, v[12:13]
	;; [unrolled: 1-line block ×3, first 2 shown]
.LBB4_33:                               ; =>This Inner Loop Header: Depth=1
	v_lshl_add_u64 v[28:29], v[8:9], 0, v[20:21]
	flat_load_ubyte v27, v[28:29] nt
	flat_load_ubyte v30, v[28:29] offset:64 nt
	flat_load_ubyte v31, v[28:29] offset:128 nt
	;; [unrolled: 1-line block ×7, first 2 shown]
	v_sub_co_u32_e32 v2, vcc, v2, v16
	v_lshl_add_u64 v[28:29], v[8:9], 0, v[22:23]
	s_nop 0
	v_subb_co_u32_e32 v3, vcc, v3, v17, vcc
	v_cmp_gt_i64_e32 vcc, 1, v[2:3]
	v_lshl_add_u64 v[20:21], v[20:21], 0, v[18:19]
	v_lshl_add_u64 v[22:23], v[22:23], 0, v[18:19]
	s_or_b64 s[6:7], vcc, s[6:7]
	s_waitcnt vmcnt(0) lgkmcnt(0)
	flat_store_byte v[28:29], v27 nt
	flat_store_byte v[28:29], v30 offset:64 nt
	flat_store_byte v[28:29], v31 offset:128 nt
	;; [unrolled: 1-line block ×7, first 2 shown]
	s_andn2_b64 exec, exec, s[6:7]
	s_cbranch_execnz .LBB4_33
; %bb.34:
	s_or_b64 exec, exec, s[6:7]
.LBB4_35:
	s_or_b64 exec, exec, s[4:5]
	v_lshlrev_b64 v[6:7], 9, v[6:7]
	v_cmp_ne_u64_e32 vcc, v[4:5], v[6:7]
	s_and_b64 exec, exec, vcc
	s_cbranch_execz .LBB4_39
; %bb.36:
	v_lshlrev_b32_e32 v3, 6, v26
	v_sub_u32_e32 v3, v25, v3
	v_lshlrev_b32_e32 v2, 6, v2
	v_sub_u32_e32 v16, v3, v2
	v_ashrrev_i32_e32 v17, 31, v16
	v_lshl_add_u64 v[2:3], v[6:7], 0, v[16:17]
	v_sub_co_u32_e32 v2, vcc, v4, v2
	s_mov_b64 s[4:5], 0
	s_nop 0
	v_subb_co_u32_e32 v3, vcc, v5, v3, vcc
	v_cmp_lt_i64_e32 vcc, 0, v[2:3]
	s_and_b64 exec, exec, vcc
	s_cbranch_execz .LBB4_39
; %bb.37:
	v_ashrrev_i32_e32 v4, 31, v24
	v_lshrrev_b32_e32 v4, 26, v4
	v_add_u32_e32 v4, v24, v4
	v_and_b32_e32 v4, 0xffffffc0, v4
	v_subrev_u32_e32 v8, 64, v4
	v_lshl_add_u64 v[0:1], v[14:15], 0, v[0:1]
	v_ashrrev_i32_e32 v9, 31, v8
	v_lshl_add_u64 v[0:1], v[0:1], 0, v[6:7]
	v_lshl_add_u64 v[8:9], v[8:9], 0, 64
	v_ashrrev_i32_e32 v5, 31, v4
	v_lshl_add_u64 v[0:1], v[0:1], 0, v[16:17]
.LBB4_38:                               ; =>This Inner Loop Header: Depth=1
	v_lshl_add_u64 v[6:7], v[12:13], 0, v[0:1]
	flat_load_ubyte v14, v[6:7] nt
	v_sub_co_u32_e32 v2, vcc, v2, v4
	v_lshl_add_u64 v[6:7], v[10:11], 0, v[0:1]
	s_nop 0
	v_subb_co_u32_e32 v3, vcc, v3, v5, vcc
	v_cmp_gt_i64_e32 vcc, 1, v[2:3]
	v_lshl_add_u64 v[0:1], v[0:1], 0, v[8:9]
	s_or_b64 s[4:5], vcc, s[4:5]
	s_waitcnt vmcnt(0) lgkmcnt(0)
	flat_store_byte v[6:7], v14 nt
	s_andn2_b64 exec, exec, s[4:5]
	s_cbranch_execnz .LBB4_38
.LBB4_39:
	s_or_b64 exec, exec, s[0:1]
                                        ; implicit-def: $vgpr36_vgpr37
                                        ; implicit-def: $vgpr34_vgpr35
                                        ; implicit-def: $vgpr14_vgpr15
                                        ; implicit-def: $vgpr4_vgpr5
                                        ; implicit-def: $vgpr10_vgpr11
                                        ; implicit-def: $vgpr23
                                        ; implicit-def: $vgpr0
                                        ; implicit-def: $vgpr31
                                        ; implicit-def: $vgpr8_vgpr9
                                        ; implicit-def: $vgpr2_vgpr3
                                        ; implicit-def: $vgpr37
.LBB4_40:
	s_andn2_saveexec_b64 s[38:39], s[2:3]
	s_cbranch_execz .LBB4_1039
; %bb.41:
	s_trap 2
	ds_read_b64 v[6:7], v0
	s_waitcnt lgkmcnt(0)
	v_cmp_ne_u32_e32 vcc, -1, v6
	s_nop 1
	v_cndmask_b32_e64 v30, 0, 1, vcc
	v_cmp_ne_u32_e32 vcc, -1, v7
	s_nop 1
	v_addc_co_u32_e64 v1, s[0:1], 0, v30, vcc
	v_lshlrev_b32_e32 v6, 1, v1
	v_cmp_le_i32_e64 s[0:1], v6, v23
	s_and_saveexec_b64 s[2:3], s[0:1]
	s_xor_b64 s[40:41], exec, s[2:3]
	s_cbranch_execz .LBB4_1036
; %bb.42:
	flat_load_dwordx2 v[28:29], v[2:3] offset:104
	s_trap 2
	s_load_dword s0, s[8:9], 0x0
	v_mov_b32_e32 v6, 0
	v_mov_b32_e32 v62, 4
	s_waitcnt lgkmcnt(0)
	s_cmp_lt_u32 s12, s0
	s_cselect_b32 s0, 12, 18
	s_add_u32 s0, s8, s0
	s_addc_u32 s1, s9, 0
	global_load_ushort v48, v6, s[0:1]
	ds_read_b32 v6, v0
	v_cmp_ge_i32_e64 s[0:1], v0, v30
	s_waitcnt lgkmcnt(0)
	v_readfirstlane_b32 s18, v6
	s_and_saveexec_b64 s[2:3], s[0:1]
	s_cbranch_execz .LBB4_52
; %bb.43:
	v_cmp_le_u32_e64 s[0:1], v1, v0
                                        ; implicit-def: $vgpr62
	s_and_saveexec_b64 s[4:5], s[0:1]
	s_xor_b64 s[0:1], exec, s[4:5]
	s_cbranch_execz .LBB4_49
; %bb.44:
	v_cndmask_b32_e64 v6, 0, 1, vcc
	v_sub_u32_e32 v6, v23, v6
	v_cmp_ge_u32_e32 vcc, v0, v6
                                        ; implicit-def: $sgpr6
	s_and_saveexec_b64 s[4:5], vcc
	s_xor_b64 s[4:5], exec, s[4:5]
; %bb.45:
	s_mov_b32 s6, 16
                                        ; implicit-def: $vgpr1
; %bb.46:
	s_or_saveexec_b64 s[4:5], s[4:5]
	v_mov_b32_e32 v62, s6
	s_xor_b64 exec, exec, s[4:5]
; %bb.47:
	v_sub_u32_e32 v1, v23, v1
	v_cmp_ge_i32_e32 vcc, v0, v1
	s_nop 1
	v_cndmask_b32_e64 v1, 0, 1, vcc
	v_lshlrev_b32_e32 v62, 5, v1
; %bb.48:
	s_or_b64 exec, exec, s[4:5]
.LBB4_49:
	s_andn2_saveexec_b64 s[0:1], s[0:1]
; %bb.50:
	v_mov_b32_e32 v62, 8
; %bb.51:
	s_or_b64 exec, exec, s[0:1]
.LBB4_52:
	s_or_b64 exec, exec, s[2:3]
	v_and_b32_e32 v1, 36, v62
	v_cmp_ne_u32_e32 vcc, 0, v1
	v_mov_b32_e32 v38, -1
	s_and_saveexec_b64 s[0:1], vcc
	s_cbranch_execz .LBB4_54
; %bb.53:
	s_trap 2
	ds_read_b32 v38, v0
.LBB4_54:
	s_or_b64 exec, exec, s[0:1]
	v_and_b32_e32 v1, 24, v62
	v_cmp_ne_u32_e64 s[0:1], 0, v1
	s_and_saveexec_b64 s[2:3], s[0:1]
	s_cbranch_execz .LBB4_56
; %bb.55:
	s_trap 2
	s_waitcnt lgkmcnt(0)
	ds_read_b32 v38, v0
.LBB4_56:
	s_or_b64 exec, exec, s[2:3]
	v_lshrrev_b64 v[6:7], 31, v[8:9]
	v_mov_b64_e32 v[50:51], 0
	v_and_b32_e32 v1, 3, v6
	s_waitcnt lgkmcnt(0)
	v_ashrrev_i32_e32 v39, 31, v38
	v_mov_b64_e32 v[6:7], v[50:51]
                                        ; implicit-def: $agpr2_agpr3
                                        ; implicit-def: $vgpr60
                                        ; implicit-def: $vgpr18_vgpr19
                                        ; implicit-def: $vgpr32_vgpr33
                                        ; implicit-def: $vgpr20_vgpr21
	s_and_saveexec_b64 s[0:1], vcc
	s_cbranch_execz .LBB4_66
; %bb.57:
	s_trap 2
	ds_read_b64 v[6:7], v0
	v_and_b32_e32 v8, 0xffff, v1
	s_movk_i32 s2, 0xa8
                                        ; implicit-def: $agpr2_agpr3
	s_waitcnt lgkmcnt(0)
	v_lshl_add_u64 v[6:7], v[38:39], 3, v[6:7]
	flat_load_dwordx2 v[6:7], v[6:7]
	s_waitcnt vmcnt(0) lgkmcnt(0)
	v_mad_u64_u32 v[6:7], s[2:3], v8, s2, v[6:7]
	flat_load_dword v8, v[6:7] offset:640
	s_mov_b64 s[2:3], 0x1f8
	v_lshl_add_u64 v[50:51], v[6:7], 0, s[2:3]
	s_waitcnt vmcnt(0) lgkmcnt(0)
	v_cmp_eq_u32_e32 vcc, 1, v8
	s_and_saveexec_b64 s[2:3], vcc
	s_cbranch_execz .LBB4_59
; %bb.58:
	flat_load_dwordx2 v[8:9], v[50:51] offset:144
	v_or_b32_e32 v62, 0x2000, v62
	s_waitcnt vmcnt(0) lgkmcnt(0)
	flat_load_dwordx2 v[6:7], v[8:9]
	s_trap 2
	v_accvgpr_write_b32 a2, v8
	v_accvgpr_write_b32 a3, v9
	s_waitcnt vmcnt(0) lgkmcnt(0)
	ds_write_b64 v0, v[6:7]
	flat_load_dwordx2 v[6:7], v[8:9] offset:8
	s_waitcnt vmcnt(0) lgkmcnt(0)
	ds_write_b64 v0, v[6:7]
	flat_load_dwordx2 v[6:7], v[8:9] offset:16
	s_waitcnt vmcnt(0) lgkmcnt(0)
	ds_write_b64 v0, v[6:7]
.LBB4_59:
	s_or_b64 exec, exec, s[2:3]
	flat_load_dwordx2 v[8:9], v[50:51] offset:104
	v_and_b32_e32 v6, 32, v62
	v_cmp_ne_u32_e32 vcc, 0, v6
                                        ; implicit-def: $vgpr20_vgpr21
	s_and_saveexec_b64 s[2:3], vcc
	s_cbranch_execz .LBB4_61
; %bb.60:
	flat_load_dwordx2 v[20:21], v[50:51] offset:56
	s_waitcnt vmcnt(0) lgkmcnt(0)
	flat_store_dwordx2 v[20:21], v[8:9] sc0 sc1
.LBB4_61:
	s_or_b64 exec, exec, s[2:3]
	v_and_b32_e32 v6, 4, v62
	v_cmp_ne_u32_e32 vcc, 0, v6
	v_mov_b64_e32 v[6:7], 0
                                        ; implicit-def: $vgpr60
                                        ; implicit-def: $vgpr18_vgpr19
                                        ; implicit-def: $vgpr32_vgpr33
	s_and_saveexec_b64 s[2:3], vcc
	s_cbranch_execz .LBB4_65
; %bb.62:
	v_and_b32_e32 v6, 0x800, v62
	v_cmp_eq_u32_e32 vcc, 0, v6
	s_and_saveexec_b64 s[4:5], vcc
	s_cbranch_execz .LBB4_64
; %bb.63:
	s_trap 2
	ds_write_b64 v0, v[50:51]
.LBB4_64:
	s_or_b64 exec, exec, s[4:5]
	flat_load_dwordx2 v[20:21], v[50:51] offset:48
	v_or_b32_e32 v16, 0x100, v62
	s_waitcnt vmcnt(0) lgkmcnt(0)
	flat_load_dwordx2 v[32:33], v[20:21] sc0 sc1
	flat_load_dwordx2 v[6:7], v[50:51] offset:96
	flat_load_dword v60, v[50:51] offset:72
	flat_load_dwordx2 v[18:19], v[50:51] offset:16
	s_waitcnt vmcnt(0) lgkmcnt(0)
	v_cmp_eq_u64_e32 vcc, 0, v[6:7]
	s_nop 1
	v_cndmask_b32_e32 v62, v16, v62, vcc
.LBB4_65:
	s_or_b64 exec, exec, s[2:3]
.LBB4_66:
	s_or_b64 exec, exec, s[0:1]
	v_and_b32_e32 v16, 24, v62
	v_cmp_ne_u32_e32 vcc, 0, v16
                                        ; implicit-def: $vgpr54_vgpr55
	s_and_saveexec_b64 s[0:1], vcc
	s_cbranch_execz .LBB4_74
; %bb.67:
	s_trap 2
	ds_read_b64 v[6:7], v0
	v_and_b32_e32 v1, 0xffff, v1
	s_movk_i32 s2, 0xa8
                                        ; implicit-def: $vgpr54_vgpr55
	s_waitcnt lgkmcnt(0)
	v_lshl_add_u64 v[6:7], v[38:39], 3, v[6:7]
	flat_load_dwordx2 v[6:7], v[6:7]
	s_waitcnt vmcnt(0) lgkmcnt(0)
	v_mad_u64_u32 v[50:51], s[2:3], v1, s2, v[6:7]
	flat_load_dwordx4 v[6:9], v[50:51] offset:96
	v_or_b32_e32 v1, 0x100, v62
	s_waitcnt vmcnt(0) lgkmcnt(0)
	v_cmp_eq_u64_e32 vcc, 0, v[6:7]
	s_nop 1
	v_cndmask_b32_e32 v62, v1, v62, vcc
	v_and_b32_e32 v1, 16, v62
	v_cmp_ne_u32_e32 vcc, 0, v1
	s_and_saveexec_b64 s[2:3], vcc
	s_cbranch_execz .LBB4_69
; %bb.68:
	flat_load_dwordx2 v[54:55], v[50:51] offset:120
	flat_load_dwordx2 v[20:21], v[50:51] offset:48
	;; [unrolled: 1-line block ×3, first 2 shown]
.LBB4_69:
	s_or_b64 exec, exec, s[2:3]
	v_and_b32_e32 v1, 8, v62
	v_cmp_ne_u32_e32 vcc, 0, v1
	s_and_saveexec_b64 s[2:3], vcc
	s_cbranch_execz .LBB4_73
; %bb.70:
	v_and_b32_e32 v1, 0x800, v62
	v_cmp_eq_u32_e32 vcc, 0, v1
	s_and_saveexec_b64 s[4:5], vcc
	s_cbranch_execz .LBB4_72
; %bb.71:
	s_trap 2
	ds_write_b64 v0, v[50:51]
.LBB4_72:
	s_or_b64 exec, exec, s[4:5]
	s_waitcnt vmcnt(0) lgkmcnt(0)
	flat_load_dwordx2 v[20:21], v[50:51] offset:56
	s_waitcnt vmcnt(0) lgkmcnt(0)
	flat_load_dwordx2 v[32:33], v[20:21] sc0 sc1
	flat_load_dword v60, v[50:51] offset:72
	flat_load_dwordx2 v[18:19], v[50:51] offset:16
.LBB4_73:
	s_or_b64 exec, exec, s[2:3]
.LBB4_74:
	s_or_b64 exec, exec, s[0:1]
	v_cmp_eq_u32_e64 s[0:1], 0, v0
	s_and_saveexec_b64 s[2:3], s[0:1]
	s_cbranch_execz .LBB4_76
; %bb.75:
	flat_load_dwordx2 v[16:17], v[2:3] offset:32
	v_mov_b32_e32 v24, v12
	v_mov_b32_e32 v25, v13
	;; [unrolled: 1-line block ×4, first 2 shown]
	ds_write2_b64 v0, v[24:25], v[26:27] offset1:1
	s_trap 2
	s_waitcnt vmcnt(0) lgkmcnt(0)
	ds_write_b64 v0, v[16:17]
	ds_write_b64 v0, v[28:29]
.LBB4_76:
	s_or_b64 exec, exec, s[2:3]
	s_mov_b64 s[44:45], 0
	v_cmp_ne_u64_e32 vcc, 0, v[4:5]
	s_waitcnt vmcnt(0)
	v_mov_b64_e32 v[28:29], 0
	s_and_saveexec_b64 s[42:43], vcc
	s_cbranch_execz .LBB4_1000
; %bb.77:
	flat_load_dword v2, v[2:3] offset:4
	v_lshlrev_b32_e32 v22, 9, v36
	v_ashrrev_i32_e32 v25, 31, v0
	v_cvt_f64_u32_e32 v[16:17], 0
	v_accvgpr_write_b32 a1, v48
	v_cmp_ne_u32_sdwa s[46:47], v23, v48 src0_sel:DWORD src1_sel:WORD_0
	v_and_b32_e32 v24, 63, v31
	v_cmp_ne_u64_e32 vcc, v[12:13], v[10:11]
	v_and_b32_e32 v48, 0x3ffffe00, v22
	v_lshrrev_b32_e32 v13, 26, v25
	v_accvgpr_write_b32 a4, v50
	s_xor_b64 s[24:25], s[16:17], -1
	v_ldexp_f64 v[10:11], v[16:17], 32
	v_cmp_eq_u32_e64 s[16:17], 0, v24
	v_cvt_f64_u32_e32 v[24:25], v48
	v_add_u32_e32 v22, v0, v13
	v_accvgpr_write_b32 a5, v51
	v_add_f64 v[50:51], v[10:11], v[24:25]
	v_ashrrev_i32_e32 v57, 6, v22
	v_and_b32_e32 v10, 0xffffffc0, v22
	v_cmp_ne_u32_e64 s[2:3], v34, v37
	s_ashr_i32 s19, s18, 31
	v_lshrrev_b32_e32 v34, 6, v23
	v_mov_b32_e32 v26, 0xfffffe00
	v_mov_b32_e32 v27, 0xfffff800
	v_sub_u32_e32 v11, v0, v10
	v_sub_u32_e32 v10, 0, v57
	s_waitcnt lgkmcnt(0)
	v_ashrrev_i32_e32 v1, 31, v60
	s_lshr_b32 s19, s19, 24
	v_lshl_add_u32 v12, v34, 9, v26
	v_lshl_add_u32 v16, v34, 11, v27
	v_accvgpr_write_b32 a18, v10
	v_lshlrev_b32_e32 v10, 11, v57
	v_cmp_ne_u32_e64 s[4:5], v35, v37
	v_accvgpr_write_b32 a7, v1
	s_mov_b64 s[20:21], 0x200
	v_and_b32_e32 v1, 0xffffffc0, v23
	s_mov_b64 s[22:23], 0x800
	v_lshlrev_b32_e32 v37, 10, v34
	s_add_i32 s18, s18, s19
	v_ashrrev_i32_e32 v13, 31, v12
	v_ashrrev_i32_e32 v17, 31, v16
	v_lshl_add_u32 v10, v11, 4, v10
	v_lshlrev_b32_e32 v28, 4, v0
	v_subrev_u32_e32 v26, 64, v1
	v_add_u32_e32 v52, 0xfffffc00, v37
	s_ashr_i32 s83, s18, 8
	v_lshl_add_u64 v[40:41], v[12:13], 0, s[20:21]
	v_lshl_add_u64 v[44:45], v[16:17], 0, s[22:23]
	v_cmp_lt_i32_e64 s[18:19], v11, v30
	v_cmp_le_i32_e64 s[20:21], v11, v30
	v_cmp_gt_i32_e64 s[22:23], 1, v11
	v_accvgpr_write_b32 a17, v11
	v_ashrrev_i32_e32 v11, 31, v10
	v_mov_b32_e32 v3, 0
	s_mov_b64 s[48:49], 0x400
	v_mov_b64_e32 v[38:39], 0
	v_ashrrev_i32_e32 v29, 31, v28
	v_accvgpr_write_b32 a10, v28
	s_and_b64 s[52:53], s[24:25], vcc
	v_ashrrev_i32_e32 v27, 31, v26
	v_ashrrev_i32_e32 v53, 31, v52
	v_accvgpr_write_b32 a12, v26
	v_accvgpr_write_b32 a21, v11
	;; [unrolled: 1-line block ×4, first 2 shown]
	v_cmp_eq_u32_e64 s[6:7], 64, v23
	v_cmp_ne_u32_e64 s[10:11], 64, v23
	v_accvgpr_write_b32 a0, v31
	s_movk_i32 s80, 0xffc0
	v_cmp_eq_u64_e64 s[12:13], 0, v[54:55]
	v_cmp_ne_u64_e64 s[14:15], 0, v[54:55]
	s_movk_i32 s81, 0x270e
	s_movk_i32 s82, 0x108
	v_mov_b32_e32 v61, 1
	s_mov_b64 s[50:51], 0x1c0
	v_mov_b32_e32 v49, v3
	v_mov_b32_e32 v35, v3
	v_accvgpr_write_b32 a11, v29
	v_accvgpr_write_b32 a13, v27
	s_waitcnt vmcnt(0)
	v_and_b32_e32 v2, 1, v2
	v_cmp_eq_u32_e64 s[24:25], 1, v2
	v_lshl_add_u64 v[42:43], v[26:27], 0, 64
	v_lshl_add_u64 v[46:47], v[52:53], 0, s[48:49]
	v_accvgpr_write_b32 a20, v10
	s_xor_b64 s[54:55], s[24:25], -1
	v_mov_b64_e32 v[28:29], v[38:39]
	v_accvgpr_write_b32 a6, v60
	v_accvgpr_write_b32 a9, v55
	v_accvgpr_write_b32 a15, v51
	v_accvgpr_write_b32 a16, v57
	s_trap 2
	s_branch .LBB4_79
.LBB4_78:                               ;   in Loop: Header=BB4_79 Depth=1
	s_or_b64 exec, exec, s[26:27]
	v_lshl_add_u64 v[38:39], v[38:39], 0, v[48:49]
	v_cmp_ge_u64_e32 vcc, v[38:39], v[4:5]
	s_or_b64 s[44:45], vcc, s[44:45]
	s_andn2_b64 exec, exec, s[44:45]
	s_cbranch_execz .LBB4_999
.LBB4_79:                               ; =>This Loop Header: Depth=1
                                        ;     Child Loop BB4_98 Depth 2
                                        ;     Child Loop BB4_133 Depth 2
	;; [unrolled: 1-line block ×8, first 2 shown]
                                        ;       Child Loop BB4_216 Depth 3
                                        ;     Child Loop BB4_222 Depth 2
                                        ;       Child Loop BB4_223 Depth 3
                                        ;     Child Loop BB4_233 Depth 2
                                        ;     Child Loop BB4_238 Depth 2
                                        ;       Child Loop BB4_239 Depth 3
                                        ;     Child Loop BB4_284 Depth 2
                                        ;     Child Loop BB4_393 Depth 2
	;; [unrolled: 1-line block ×25, first 2 shown]
                                        ;       Child Loop BB4_305 Depth 3
                                        ;     Child Loop BB4_311 Depth 2
                                        ;       Child Loop BB4_312 Depth 3
                                        ;     Child Loop BB4_322 Depth 2
                                        ;     Child Loop BB4_327 Depth 2
                                        ;       Child Loop BB4_328 Depth 3
                                        ;     Child Loop BB4_374 Depth 2
                                        ;     Child Loop BB4_412 Depth 2
	;; [unrolled: 1-line block ×17, first 2 shown]
	v_sub_co_u32_e32 v2, vcc, v4, v38
	v_cvt_f64_u32_e32 v[16:17], v2
	s_nop 0
	v_subb_co_u32_e32 v12, vcc, v5, v39, vcc
	v_cvt_f64_u32_e32 v[12:13], v12
	v_ldexp_f64 v[12:13], v[12:13], 32
	v_add_f64 v[12:13], v[12:13], v[16:17]
	v_max_f64 v[16:17], v[50:51], v[50:51]
	v_min_f64 v[12:13], v[16:17], v[12:13]
	v_cvt_i32_f64_e32 v2, v[12:13]
	v_max_i32_e32 v30, 0, v2
	v_add_u32_e32 v12, 15, v30
	v_ashrrev_i32_e32 v13, 31, v12
	v_lshrrev_b32_e32 v13, 28, v13
	v_add_u32_e32 v12, v12, v13
	v_and_b32_e32 v12, -16, v12
	v_lshl_add_u64 v[10:11], v[38:39], 0, v[14:15]
	v_max_i32_e32 v58, s83, v12
	v_cmp_gt_i32_e64 s[26:27], 1, v2
	v_cmp_lt_i32_e64 s[28:29], 0, v2
	s_mov_b64 s[56:57], 0
	s_and_saveexec_b64 vcc, s[2:3]
	s_xor_b64 s[58:59], exec, vcc
	s_cbranch_execz .LBB4_87
; %bb.80:                               ;   in Loop: Header=BB4_79 Depth=1
	s_mov_b64 s[34:35], 0
	s_and_saveexec_b64 vcc, s[4:5]
	s_xor_b64 s[56:57], exec, vcc
	s_cbranch_execz .LBB4_568
; %bb.81:                               ;   in Loop: Header=BB4_79 Depth=1
	v_mov_b32_e32 v12, 0
	s_and_saveexec_b64 s[60:61], s[28:29]
	s_cbranch_execz .LBB4_428
; %bb.82:                               ;   in Loop: Header=BB4_79 Depth=1
	s_and_saveexec_b64 s[30:31], s[0:1]
	s_cbranch_execz .LBB4_84
; %bb.83:                               ;   in Loop: Header=BB4_79 Depth=1
	s_trap 2
	ds_read_b128 v[24:27], v0
	s_waitcnt lgkmcnt(0)
	v_lshl_add_u64 v[12:13], v[24:25], 0, v[10:11]
	v_lshl_add_u64 v[10:11], v[26:27], 0, v[10:11]
	v_cmp_ne_u64_e32 vcc, 0, v[26:27]
	ds_write_b64 v0, v[12:13]
	s_nop 0
	v_cndmask_b32_e32 v11, 0, v11, vcc
	v_cndmask_b32_e32 v10, 0, v10, vcc
	ds_write_b64 v0, v[10:11]
.LBB4_84:                               ;   in Loop: Header=BB4_79 Depth=1
	s_or_b64 exec, exec, s[30:31]
	v_and_b32_e32 v2, 12, v62
	v_cmp_ne_u32_e32 vcc, 0, v2
	s_mov_b64 s[34:35], -1
	s_and_saveexec_b64 s[30:31], vcc
	s_cbranch_execz .LBB4_111
; %bb.85:                               ;   in Loop: Header=BB4_79 Depth=1
	v_and_b32_e32 v2, 8, v62
	v_lshl_add_u64 v[12:13], v[32:33], 0, v[2:3]
	v_lshl_add_u64 v[10:11], v[8:9], 0, 1
	v_cmp_lt_u64_e32 vcc, v[12:13], v[10:11]
	v_mov_b32_e32 v12, 1
	s_and_saveexec_b64 s[34:35], vcc
	s_cbranch_execz .LBB4_110
; %bb.86:                               ;   in Loop: Header=BB4_79 Depth=1
	s_mov_b64 s[36:37], 0
	v_mov_b32_e32 v12, 0
                                        ; implicit-def: $sgpr62_sgpr63
	s_branch .LBB4_98
.LBB4_87:                               ;   in Loop: Header=BB4_79 Depth=1
	s_andn2_saveexec_b64 s[58:59], s[58:59]
	s_cbranch_execz .LBB4_997
.LBB4_88:                               ;   in Loop: Header=BB4_79 Depth=1
	s_mov_b64 s[34:35], 0
	s_mov_b64 s[30:31], s[56:57]
	s_and_saveexec_b64 vcc, s[52:53]
	s_xor_b64 s[60:61], exec, vcc
	s_cbranch_execz .LBB4_617
; %bb.89:                               ;   in Loop: Header=BB4_79 Depth=1
	v_mov_b32_e32 v2, 0
	s_and_saveexec_b64 s[62:63], s[28:29]
	s_cbranch_execz .LBB4_480
; %bb.90:                               ;   in Loop: Header=BB4_79 Depth=1
	s_and_saveexec_b64 s[30:31], s[0:1]
	s_cbranch_execz .LBB4_92
; %bb.91:                               ;   in Loop: Header=BB4_79 Depth=1
	s_trap 2
	ds_read2_b64 v[24:27], v0 offset1:1
	ds_read_b64 v[12:13], v0
	s_waitcnt lgkmcnt(0)
	v_lshl_add_u64 v[16:17], v[24:25], 0, v[10:11]
	v_lshl_add_u64 v[24:25], v[26:27], 0, v[10:11]
	;; [unrolled: 1-line block ×3, first 2 shown]
	v_cmp_ne_u64_e32 vcc, 0, v[12:13]
	ds_write_b64 v0, v[16:17]
	ds_write_b64 v0, v[24:25]
	v_cndmask_b32_e32 v11, 0, v11, vcc
	v_cndmask_b32_e32 v10, 0, v10, vcc
	ds_write_b64 v0, v[10:11]
.LBB4_92:                               ;   in Loop: Header=BB4_79 Depth=1
	s_or_b64 exec, exec, s[30:31]
	v_and_b32_e32 v2, 8, v62
	v_cmp_ne_u32_e32 vcc, 0, v2
	s_mov_b64 s[34:35], -1
	s_and_saveexec_b64 s[30:31], vcc
	s_cbranch_execz .LBB4_139
; %bb.93:                               ;   in Loop: Header=BB4_79 Depth=1
	v_lshl_add_u64 v[12:13], v[32:33], 0, 8
	v_lshl_add_u64 v[10:11], v[8:9], 0, 1
	v_cmp_lt_u64_e32 vcc, v[12:13], v[10:11]
	v_mov_b32_e32 v2, 1
	s_and_saveexec_b64 s[34:35], vcc
	s_cbranch_execz .LBB4_138
; %bb.94:                               ;   in Loop: Header=BB4_79 Depth=1
	s_mov_b64 s[36:37], 0
	v_mov_b32_e32 v2, 0
                                        ; implicit-def: $sgpr64_sgpr65
	s_branch .LBB4_105
.LBB4_95:                               ;   in Loop: Header=BB4_98 Depth=2
	s_or_b64 exec, exec, s[70:71]
	v_mov_b32_e32 v13, 0
	s_orn2_b64 s[68:69], s[68:69], exec
.LBB4_96:                               ;   in Loop: Header=BB4_98 Depth=2
	s_or_b64 exec, exec, s[66:67]
	s_andn2_b64 vcc, s[62:63], exec
	s_and_b64 s[62:63], s[68:69], exec
	s_or_b64 s[62:63], vcc, s[62:63]
	v_mov_b32_e32 v12, v13
.LBB4_97:                               ;   in Loop: Header=BB4_98 Depth=2
	s_or_b64 exec, exec, s[64:65]
	s_waitcnt vmcnt(0) lgkmcnt(0)
	v_lshl_add_u64 v[16:17], v[32:33], 0, v[2:3]
	v_cmp_ge_u64_e32 vcc, v[16:17], v[10:11]
	s_xor_b64 s[64:65], s[62:63], -1
	s_or_b64 vcc, s[64:65], vcc
	s_and_b64 vcc, exec, vcc
	s_or_b64 s[36:37], vcc, s[36:37]
	s_andn2_b64 exec, exec, s[36:37]
	s_cbranch_execz .LBB4_109
.LBB4_98:                               ;   Parent Loop BB4_79 Depth=1
                                        ; =>  This Inner Loop Header: Depth=2
	s_sleep 1
	flat_load_dwordx2 v[32:33], v[20:21] sc0 sc1
	v_and_b32_e32 v13, 64, v62
	v_cmp_eq_u32_e32 vcc, 0, v13
	s_andn2_b64 s[62:63], s[62:63], exec
	s_and_saveexec_b64 s[64:65], vcc
	s_cbranch_execz .LBB4_97
; %bb.99:                               ;   in Loop: Header=BB4_98 Depth=2
	v_add_u32_e32 v13, 1, v12
	v_cmp_lt_i32_e32 vcc, s81, v12
	s_mov_b64 s[68:69], -1
	s_and_saveexec_b64 s[66:67], vcc
	s_cbranch_execz .LBB4_96
; %bb.100:                              ;   in Loop: Header=BB4_98 Depth=2
	s_trap 2
	ds_read_b64 v[12:13], v0
	s_waitcnt vmcnt(0) lgkmcnt(0)
	flat_load_dword v12, v[12:13] sc0 sc1
	s_waitcnt vmcnt(0) lgkmcnt(0)
	buffer_inv sc0 sc1
	v_cmp_ne_u32_e32 vcc, 0, v12
	s_and_saveexec_b64 s[70:71], vcc
	s_cbranch_execz .LBB4_95
; %bb.101:                              ;   in Loop: Header=BB4_98 Depth=2
	v_or_b32_e32 v62, 64, v62
	s_xor_b64 s[68:69], exec, -1
	ds_write_b32 v0, v12
	s_trap 2
	s_branch .LBB4_95
.LBB4_102:                              ;   in Loop: Header=BB4_105 Depth=2
	s_or_b64 exec, exec, s[72:73]
	v_mov_b32_e32 v12, 0
	s_orn2_b64 s[70:71], s[70:71], exec
.LBB4_103:                              ;   in Loop: Header=BB4_105 Depth=2
	s_or_b64 exec, exec, s[68:69]
	s_andn2_b64 vcc, s[64:65], exec
	s_and_b64 s[64:65], s[70:71], exec
	s_or_b64 s[64:65], vcc, s[64:65]
	v_mov_b32_e32 v2, v12
.LBB4_104:                              ;   in Loop: Header=BB4_105 Depth=2
	s_or_b64 exec, exec, s[66:67]
	s_waitcnt vmcnt(0) lgkmcnt(0)
	v_lshl_add_u64 v[12:13], v[32:33], 0, 8
	v_cmp_ge_u64_e32 vcc, v[12:13], v[10:11]
	s_xor_b64 s[66:67], s[64:65], -1
	s_or_b64 vcc, s[66:67], vcc
	s_and_b64 vcc, exec, vcc
	s_or_b64 s[36:37], vcc, s[36:37]
	s_andn2_b64 exec, exec, s[36:37]
	s_cbranch_execz .LBB4_137
.LBB4_105:                              ;   Parent Loop BB4_79 Depth=1
                                        ; =>  This Inner Loop Header: Depth=2
	s_sleep 1
	flat_load_dwordx2 v[32:33], v[20:21] sc0 sc1
	v_and_b32_e32 v12, 64, v62
	v_cmp_eq_u32_e32 vcc, 0, v12
	s_andn2_b64 s[64:65], s[64:65], exec
	s_and_saveexec_b64 s[66:67], vcc
	s_cbranch_execz .LBB4_104
; %bb.106:                              ;   in Loop: Header=BB4_105 Depth=2
	v_add_u32_e32 v12, 1, v2
	v_cmp_lt_i32_e32 vcc, s81, v2
	s_mov_b64 s[70:71], -1
	s_and_saveexec_b64 s[68:69], vcc
	s_cbranch_execz .LBB4_103
; %bb.107:                              ;   in Loop: Header=BB4_105 Depth=2
	s_trap 2
	ds_read_b64 v[12:13], v0
	s_waitcnt vmcnt(0) lgkmcnt(0)
	flat_load_dword v2, v[12:13] sc0 sc1
	s_waitcnt vmcnt(0) lgkmcnt(0)
	buffer_inv sc0 sc1
	v_cmp_ne_u32_e32 vcc, 0, v2
	s_and_saveexec_b64 s[72:73], vcc
	s_cbranch_execz .LBB4_102
; %bb.108:                              ;   in Loop: Header=BB4_105 Depth=2
	v_or_b32_e32 v62, 64, v62
	s_xor_b64 s[70:71], exec, -1
	ds_write_b32 v0, v2
	s_trap 2
	s_branch .LBB4_102
.LBB4_109:                              ;   in Loop: Header=BB4_79 Depth=1
	s_or_b64 exec, exec, s[36:37]
	v_and_b32_e32 v12, 12, v62
.LBB4_110:                              ;   in Loop: Header=BB4_79 Depth=1
	s_or_b64 exec, exec, s[34:35]
	v_cmp_eq_u32_e32 vcc, 0, v12
	s_orn2_b64 s[34:35], vcc, exec
	;;#ASMSTART
	s_wakeup
	;;#ASMEND
.LBB4_111:                              ;   in Loop: Header=BB4_79 Depth=1
	s_or_b64 exec, exec, s[30:31]
	s_xor_b64 vcc, s[34:35], -1
	v_min_i32_e32 v58, v58, v30
	s_and_saveexec_b64 s[34:35], vcc
	s_cbranch_execz .LBB4_125
; %bb.112:                              ;   in Loop: Header=BB4_79 Depth=1
	v_and_b32_e32 v2, 0x108, v62
	v_cmp_ne_u32_e32 vcc, s82, v2
	s_and_saveexec_b64 s[30:31], vcc
	s_xor_b64 vcc, exec, s[30:31]
                                        ; implicit-def: $vgpr10_vgpr11
; %bb.113:                              ;   in Loop: Header=BB4_79 Depth=1
	v_and_b32_e32 v10, 7, v8
; %bb.114:                              ;   in Loop: Header=BB4_79 Depth=1
	s_andn2_saveexec_b64 vcc, vcc
	s_cbranch_execz .LBB4_116
; %bb.115:                              ;   in Loop: Header=BB4_79 Depth=1
	v_and_b32_e32 v10, 7, v8
	v_mad_u64_u32 v[12:13], s[30:31], v10, 24, v[6:7]
	v_ashrrev_i32_e32 v59, 31, v58
	flat_store_dwordx2 v[12:13], v[58:59] offset:8
.LBB4_116:                              ;   in Loop: Header=BB4_79 Depth=1
	s_or_b64 exec, exec, vcc
	v_and_b32_e32 v2, 0x100, v62
	v_cmp_ne_u32_e32 vcc, 0, v2
	s_mov_b64 s[30:31], -1
                                        ; implicit-def: $vgpr12_vgpr13
	s_and_saveexec_b64 s[36:37], vcc
	s_cbranch_execz .LBB4_120
; %bb.117:                              ;   in Loop: Header=BB4_79 Depth=1
	v_mad_u64_u32 v[16:17], vcc, v10, 24, v[6:7]
	v_mov_b32_e32 v2, v17
	v_mad_u64_u32 v[12:13], vcc, v3, 24, v[2:3]
	v_mov_b32_e32 v17, v12
	flat_load_dword v2, v[16:17]
                                        ; implicit-def: $vgpr12_vgpr13
	s_waitcnt vmcnt(0) lgkmcnt(0)
	v_cmp_ne_u32_e32 vcc, 1, v2
	v_cmp_eq_u32_e64 s[30:31], 1, v2
	s_and_saveexec_b64 s[62:63], s[30:31]
	s_cbranch_execz .LBB4_119
; %bb.118:                              ;   in Loop: Header=BB4_79 Depth=1
	flat_load_dword v12, v[16:17] offset:4 sc0 sc1
	s_waitcnt vmcnt(0) lgkmcnt(0)
	v_ashrrev_i32_e32 v13, 31, v12
.LBB4_119:                              ;   in Loop: Header=BB4_79 Depth=1
	s_or_b64 exec, exec, s[62:63]
	s_orn2_b64 s[30:31], vcc, exec
.LBB4_120:                              ;   in Loop: Header=BB4_79 Depth=1
	s_or_b64 exec, exec, s[36:37]
	s_and_saveexec_b64 vcc, s[30:31]
; %bb.121:                              ;   in Loop: Header=BB4_79 Depth=1
	v_accvgpr_read_b32 v11, a7
	v_mul_lo_u32 v2, v3, v60
	v_mul_lo_u32 v11, v10, v11
	v_mad_u64_u32 v[12:13], s[30:31], v10, v60, 0
	v_add3_u32 v13, v13, v11, v2
; %bb.122:                              ;   in Loop: Header=BB4_79 Depth=1
	s_or_b64 exec, exec, vcc
	v_and_b32_e32 v2, 0x2000, v62
	v_lshl_add_u64 v[10:11], v[18:19], 0, v[12:13]
	v_cmp_ne_u32_e32 vcc, 0, v2
	s_trap 2
	ds_write_b64 v0, v[10:11]
	s_and_saveexec_b64 s[30:31], vcc
	s_cbranch_execz .LBB4_124
; %bb.123:                              ;   in Loop: Header=BB4_79 Depth=1
	ds_read_b64 v[10:11], v0 offset:584
	s_waitcnt lgkmcnt(0)
	v_lshl_add_u64 v[10:11], v[10:11], 0, 1
	ds_write_b64 v0, v[10:11] offset:584
.LBB4_124:                              ;   in Loop: Header=BB4_79 Depth=1
	s_or_b64 exec, exec, s[30:31]
	v_lshl_add_u64 v[8:9], v[8:9], 0, 1
.LBB4_125:                              ;   in Loop: Header=BB4_79 Depth=1
	s_or_b64 exec, exec, s[34:35]
	s_and_saveexec_b64 s[30:31], s[10:11]
	s_cbranch_execz .LBB4_168
; %bb.126:                              ;   in Loop: Header=BB4_79 Depth=1
	s_and_saveexec_b64 vcc, s[46:47]
	s_xor_b64 s[34:35], exec, vcc
	s_cbranch_execz .LBB4_165
; %bb.127:                              ;   in Loop: Header=BB4_79 Depth=1
	s_and_saveexec_b64 s[36:37], s[16:17]
	s_cbranch_execz .LBB4_164
; %bb.128:                              ;   in Loop: Header=BB4_79 Depth=1
	s_mov_b64 s[64:65], exec
	v_mbcnt_lo_u32_b32 v2, s64, 0
	v_mbcnt_hi_u32_b32 v2, s65, v2
	v_cmp_eq_u32_e32 vcc, 0, v2
	s_waitcnt lgkmcnt(0)
	s_and_saveexec_b64 s[62:63], vcc
	s_cbranch_execz .LBB4_130
; %bb.129:                              ;   in Loop: Header=BB4_79 Depth=1
	s_bcnt1_i32_b64 vcc_lo, s[64:65]
	v_mov_b32_e32 v2, vcc_lo
	ds_add_u64 v0, v[2:3]
	s_trap 2
.LBB4_130:                              ;   in Loop: Header=BB4_79 Depth=1
	s_or_b64 exec, exec, s[62:63]
	s_trap 2
	ds_read_b64 v[10:11], v0
	v_lshl_add_u64 v[28:29], v[28:29], 0, v[34:35]
	s_waitcnt lgkmcnt(0)
	v_cmp_lt_u64_e32 vcc, v[10:11], v[28:29]
	s_and_saveexec_b64 s[62:63], vcc
	s_cbranch_execz .LBB4_163
; %bb.131:                              ;   in Loop: Header=BB4_79 Depth=1
	s_mov_b32 s74, 0
	s_mov_b64 s[64:65], 0
                                        ; implicit-def: $sgpr66_sgpr67
                                        ; implicit-def: $sgpr68_sgpr69
	s_branch .LBB4_133
.LBB4_132:                              ;   in Loop: Header=BB4_133 Depth=2
	s_or_b64 exec, exec, s[72:73]
	s_and_b64 vcc, exec, vcc
	s_or_b64 s[64:65], vcc, s[64:65]
	s_andn2_b64 vcc, s[66:67], exec
	s_and_b64 s[66:67], s[68:69], exec
	s_or_b64 s[66:67], vcc, s[66:67]
	s_andn2_b64 exec, exec, s[64:65]
	s_cbranch_execz .LBB4_161
.LBB4_133:                              ;   Parent Loop BB4_79 Depth=1
                                        ; =>  This Inner Loop Header: Depth=2
	s_add_i32 s74, s74, 1
	s_cmpk_lg_i32 s74, 0x2710
	s_cselect_b64 s[70:71], -1, 0
	s_and_b64 vcc, exec, s[70:71]
                                        ; implicit-def: $sgpr72_sgpr73
	s_cbranch_vccnz .LBB4_135
; %bb.134:                              ;   in Loop: Header=BB4_133 Depth=2
	s_trap 2
	ds_read_b64 v[10:11], v0
	s_andn2_b64 s[70:71], s[70:71], exec
	s_mov_b32 s74, 0
	s_mov_b64 s[72:73], -1
	s_waitcnt vmcnt(0) lgkmcnt(0)
	flat_load_dword v2, v[10:11] sc0 sc1
	s_waitcnt vmcnt(0) lgkmcnt(0)
	buffer_inv sc0 sc1
	v_cmp_eq_u32_e32 vcc, 0, v2
	s_and_b64 vcc, vcc, exec
	s_or_b64 s[70:71], s[70:71], vcc
.LBB4_135:                              ;   in Loop: Header=BB4_133 Depth=2
	s_andn2_b64 s[68:69], s[68:69], exec
	s_and_b64 s[72:73], s[72:73], exec
	s_mov_b64 vcc, -1
	s_or_b64 s[68:69], s[68:69], s[72:73]
	s_and_saveexec_b64 s[72:73], s[70:71]
	s_cbranch_execz .LBB4_132
; %bb.136:                              ;   in Loop: Header=BB4_133 Depth=2
	s_sleep 1
	s_trap 2
	ds_read_b64 v[10:11], v0
	s_andn2_b64 s[68:69], s[68:69], exec
	s_waitcnt lgkmcnt(0)
	v_cmp_ge_u64_e32 vcc, v[10:11], v[28:29]
	s_orn2_b64 vcc, vcc, exec
	s_branch .LBB4_132
.LBB4_137:                              ;   in Loop: Header=BB4_79 Depth=1
	s_or_b64 exec, exec, s[36:37]
	v_and_b32_e32 v2, 8, v62
.LBB4_138:                              ;   in Loop: Header=BB4_79 Depth=1
	s_or_b64 exec, exec, s[34:35]
	v_cmp_eq_u32_e32 vcc, 0, v2
	s_orn2_b64 s[34:35], vcc, exec
	;;#ASMSTART
	s_wakeup
	;;#ASMEND
.LBB4_139:                              ;   in Loop: Header=BB4_79 Depth=1
	s_or_b64 exec, exec, s[30:31]
	s_xor_b64 vcc, s[34:35], -1
	v_min_i32_e32 v58, v58, v30
	s_and_saveexec_b64 s[34:35], vcc
	s_cbranch_execz .LBB4_149
; %bb.140:                              ;   in Loop: Header=BB4_79 Depth=1
	v_and_b32_e32 v2, 0x100, v62
	v_cmp_ne_u32_e32 vcc, 0, v2
	v_and_b32_e32 v2, 7, v8
	s_mov_b64 s[30:31], -1
                                        ; implicit-def: $vgpr10_vgpr11
	s_and_saveexec_b64 s[36:37], vcc
	s_cbranch_execz .LBB4_144
; %bb.141:                              ;   in Loop: Header=BB4_79 Depth=1
	v_mad_u64_u32 v[12:13], vcc, v2, 24, v[6:7]
	flat_load_dword v10, v[12:13]
	v_ashrrev_i32_e32 v59, 31, v58
	flat_store_dwordx2 v[12:13], v[58:59] offset:8
	s_waitcnt vmcnt(0) lgkmcnt(0)
	v_cmp_ne_u32_e32 vcc, 1, v10
	v_cmp_eq_u32_e64 s[30:31], 1, v10
                                        ; implicit-def: $vgpr10_vgpr11
	s_and_saveexec_b64 s[64:65], s[30:31]
	s_cbranch_execz .LBB4_143
; %bb.142:                              ;   in Loop: Header=BB4_79 Depth=1
	flat_load_dword v10, v[12:13] offset:4 sc0 sc1
	s_waitcnt vmcnt(0) lgkmcnt(0)
	v_ashrrev_i32_e32 v11, 31, v10
.LBB4_143:                              ;   in Loop: Header=BB4_79 Depth=1
	s_or_b64 exec, exec, s[64:65]
	s_orn2_b64 s[30:31], vcc, exec
.LBB4_144:                              ;   in Loop: Header=BB4_79 Depth=1
	s_or_b64 exec, exec, s[36:37]
	s_and_saveexec_b64 vcc, s[30:31]
; %bb.145:                              ;   in Loop: Header=BB4_79 Depth=1
	v_mad_i64_i32 v[10:11], s[30:31], v2, v60, 0
; %bb.146:                              ;   in Loop: Header=BB4_79 Depth=1
	s_or_b64 exec, exec, vcc
	v_and_b32_e32 v2, 0x2000, v62
	v_lshl_add_u64 v[10:11], v[18:19], 0, v[10:11]
	v_cmp_ne_u32_e32 vcc, 0, v2
	ds_write_b64 v0, v[10:11] offset:792
	s_and_saveexec_b64 s[30:31], vcc
	s_cbranch_execz .LBB4_148
; %bb.147:                              ;   in Loop: Header=BB4_79 Depth=1
	ds_read_b64 v[10:11], v0 offset:584
	s_waitcnt lgkmcnt(0)
	v_lshl_add_u64 v[10:11], v[10:11], 0, 1
	ds_write_b64 v0, v[10:11] offset:584
.LBB4_148:                              ;   in Loop: Header=BB4_79 Depth=1
	s_or_b64 exec, exec, s[30:31]
	v_lshl_add_u64 v[8:9], v[8:9], 0, 1
.LBB4_149:                              ;   in Loop: Header=BB4_79 Depth=1
	s_or_b64 exec, exec, s[34:35]
	s_and_saveexec_b64 s[30:31], s[10:11]
	s_cbranch_execz .LBB4_187
; %bb.150:                              ;   in Loop: Header=BB4_79 Depth=1
	s_and_saveexec_b64 vcc, s[46:47]
	s_xor_b64 s[34:35], exec, vcc
	s_cbranch_execz .LBB4_184
; %bb.151:                              ;   in Loop: Header=BB4_79 Depth=1
	s_and_saveexec_b64 s[36:37], s[16:17]
	s_cbranch_execz .LBB4_183
; %bb.152:                              ;   in Loop: Header=BB4_79 Depth=1
	s_mov_b64 s[66:67], exec
	v_mbcnt_lo_u32_b32 v2, s66, 0
	v_mbcnt_hi_u32_b32 v2, s67, v2
	v_cmp_eq_u32_e32 vcc, 0, v2
	s_waitcnt lgkmcnt(0)
	s_and_saveexec_b64 s[64:65], vcc
	s_cbranch_execz .LBB4_154
; %bb.153:                              ;   in Loop: Header=BB4_79 Depth=1
	s_bcnt1_i32_b64 vcc_lo, s[66:67]
	v_mov_b32_e32 v2, vcc_lo
	ds_add_u64 v0, v[2:3]
	s_trap 2
.LBB4_154:                              ;   in Loop: Header=BB4_79 Depth=1
	s_or_b64 exec, exec, s[64:65]
	s_trap 2
	ds_read_b64 v[10:11], v0
	v_lshl_add_u64 v[28:29], v[28:29], 0, v[34:35]
	s_waitcnt lgkmcnt(0)
	v_cmp_lt_u64_e32 vcc, v[10:11], v[28:29]
	s_and_saveexec_b64 s[64:65], vcc
	s_cbranch_execz .LBB4_182
; %bb.155:                              ;   in Loop: Header=BB4_79 Depth=1
	s_mov_b32 s76, 0
	s_mov_b64 s[66:67], 0
                                        ; implicit-def: $sgpr68_sgpr69
                                        ; implicit-def: $sgpr70_sgpr71
	s_branch .LBB4_157
.LBB4_156:                              ;   in Loop: Header=BB4_157 Depth=2
	s_or_b64 exec, exec, s[74:75]
	s_and_b64 vcc, exec, vcc
	s_or_b64 s[66:67], vcc, s[66:67]
	s_andn2_b64 vcc, s[68:69], exec
	s_and_b64 s[68:69], s[70:71], exec
	s_or_b64 s[68:69], vcc, s[68:69]
	s_andn2_b64 exec, exec, s[66:67]
	s_cbranch_execz .LBB4_180
.LBB4_157:                              ;   Parent Loop BB4_79 Depth=1
                                        ; =>  This Inner Loop Header: Depth=2
	s_add_i32 s76, s76, 1
	s_cmpk_lg_i32 s76, 0x2710
	s_cselect_b64 s[72:73], -1, 0
	s_and_b64 vcc, exec, s[72:73]
                                        ; implicit-def: $sgpr74_sgpr75
	s_cbranch_vccnz .LBB4_159
; %bb.158:                              ;   in Loop: Header=BB4_157 Depth=2
	s_trap 2
	ds_read_b64 v[10:11], v0
	s_andn2_b64 s[72:73], s[72:73], exec
	s_mov_b32 s76, 0
	s_mov_b64 s[74:75], -1
	s_waitcnt vmcnt(0) lgkmcnt(0)
	flat_load_dword v2, v[10:11] sc0 sc1
	s_waitcnt vmcnt(0) lgkmcnt(0)
	buffer_inv sc0 sc1
	v_cmp_eq_u32_e32 vcc, 0, v2
	s_and_b64 vcc, vcc, exec
	s_or_b64 s[72:73], s[72:73], vcc
.LBB4_159:                              ;   in Loop: Header=BB4_157 Depth=2
	s_andn2_b64 s[70:71], s[70:71], exec
	s_and_b64 s[74:75], s[74:75], exec
	s_mov_b64 vcc, -1
	s_or_b64 s[70:71], s[70:71], s[74:75]
	s_and_saveexec_b64 s[74:75], s[72:73]
	s_cbranch_execz .LBB4_156
; %bb.160:                              ;   in Loop: Header=BB4_157 Depth=2
	s_sleep 1
	s_trap 2
	ds_read_b64 v[10:11], v0
	s_andn2_b64 s[70:71], s[70:71], exec
	s_waitcnt lgkmcnt(0)
	v_cmp_ge_u64_e32 vcc, v[10:11], v[28:29]
	s_orn2_b64 vcc, vcc, exec
	s_branch .LBB4_156
.LBB4_161:                              ;   in Loop: Header=BB4_79 Depth=1
	s_or_b64 exec, exec, s[64:65]
	s_and_saveexec_b64 vcc, s[66:67]
	s_xor_b64 vcc, exec, vcc
	s_cbranch_execz .LBB4_163
; %bb.162:                              ;   in Loop: Header=BB4_79 Depth=1
	ds_write_b32 v0, v61
	s_trap 2
.LBB4_163:                              ;   in Loop: Header=BB4_79 Depth=1
	s_or_b64 exec, exec, s[62:63]
	;;#ASMSTART
	s_wakeup
	;;#ASMEND
.LBB4_164:                              ;   in Loop: Header=BB4_79 Depth=1
	s_or_b64 exec, exec, s[36:37]
.LBB4_165:                              ;   in Loop: Header=BB4_79 Depth=1
	s_andn2_saveexec_b64 vcc, s[34:35]
	s_cbranch_execz .LBB4_167
; %bb.166:                              ;   in Loop: Header=BB4_79 Depth=1
	s_waitcnt lgkmcnt(0)
	s_barrier
.LBB4_167:                              ;   in Loop: Header=BB4_79 Depth=1
	s_or_b64 exec, exec, vcc
.LBB4_168:                              ;   in Loop: Header=BB4_79 Depth=1
	s_or_b64 exec, exec, s[30:31]
	s_trap 2
	ds_read_b32 v10, v0
	v_and_b32_e32 v2, 0x4000, v62
	v_cmp_ne_u32_e32 vcc, 0, v2
	s_xor_b64 s[30:31], s[6:7], -1
	s_and_b64 vcc, s[30:31], vcc
	s_and_saveexec_b64 s[30:31], vcc
	s_cbranch_execz .LBB4_206
; %bb.169:                              ;   in Loop: Header=BB4_79 Depth=1
	s_and_saveexec_b64 vcc, s[46:47]
	s_xor_b64 s[34:35], exec, vcc
	s_cbranch_execz .LBB4_203
; %bb.170:                              ;   in Loop: Header=BB4_79 Depth=1
	s_and_saveexec_b64 s[36:37], s[16:17]
	s_cbranch_execz .LBB4_202
; %bb.171:                              ;   in Loop: Header=BB4_79 Depth=1
	s_mov_b64 s[64:65], exec
	v_mbcnt_lo_u32_b32 v2, s64, 0
	v_mbcnt_hi_u32_b32 v2, s65, v2
	v_cmp_eq_u32_e32 vcc, 0, v2
	s_waitcnt lgkmcnt(0)
	s_and_saveexec_b64 s[62:63], vcc
	s_cbranch_execz .LBB4_173
; %bb.172:                              ;   in Loop: Header=BB4_79 Depth=1
	s_bcnt1_i32_b64 vcc_lo, s[64:65]
	v_mov_b32_e32 v2, vcc_lo
	ds_add_u64 v0, v[2:3]
	s_trap 2
.LBB4_173:                              ;   in Loop: Header=BB4_79 Depth=1
	s_or_b64 exec, exec, s[62:63]
	s_trap 2
	ds_read_b64 v[12:13], v0
	v_lshl_add_u64 v[28:29], v[28:29], 0, v[34:35]
	s_waitcnt lgkmcnt(0)
	v_cmp_lt_u64_e32 vcc, v[12:13], v[28:29]
	s_and_saveexec_b64 s[62:63], vcc
	s_cbranch_execz .LBB4_201
; %bb.174:                              ;   in Loop: Header=BB4_79 Depth=1
	s_mov_b32 s74, 0
	s_mov_b64 s[64:65], 0
                                        ; implicit-def: $sgpr66_sgpr67
                                        ; implicit-def: $sgpr68_sgpr69
	s_branch .LBB4_176
.LBB4_175:                              ;   in Loop: Header=BB4_176 Depth=2
	s_or_b64 exec, exec, s[72:73]
	s_and_b64 vcc, exec, vcc
	s_or_b64 s[64:65], vcc, s[64:65]
	s_andn2_b64 vcc, s[66:67], exec
	s_and_b64 s[66:67], s[68:69], exec
	s_or_b64 s[66:67], vcc, s[66:67]
	s_andn2_b64 exec, exec, s[64:65]
	s_cbranch_execz .LBB4_199
.LBB4_176:                              ;   Parent Loop BB4_79 Depth=1
                                        ; =>  This Inner Loop Header: Depth=2
	s_add_i32 s74, s74, 1
	s_cmpk_lg_i32 s74, 0x2710
	s_cselect_b64 s[70:71], -1, 0
	s_and_b64 vcc, exec, s[70:71]
                                        ; implicit-def: $sgpr72_sgpr73
	s_cbranch_vccnz .LBB4_178
; %bb.177:                              ;   in Loop: Header=BB4_176 Depth=2
	s_trap 2
	ds_read_b64 v[12:13], v0
	s_andn2_b64 s[70:71], s[70:71], exec
	s_mov_b32 s74, 0
	s_mov_b64 s[72:73], -1
	s_waitcnt vmcnt(0) lgkmcnt(0)
	flat_load_dword v2, v[12:13] sc0 sc1
	s_waitcnt vmcnt(0) lgkmcnt(0)
	buffer_inv sc0 sc1
	v_cmp_eq_u32_e32 vcc, 0, v2
	s_and_b64 vcc, vcc, exec
	s_or_b64 s[70:71], s[70:71], vcc
.LBB4_178:                              ;   in Loop: Header=BB4_176 Depth=2
	s_andn2_b64 s[68:69], s[68:69], exec
	s_and_b64 s[72:73], s[72:73], exec
	s_mov_b64 vcc, -1
	s_or_b64 s[68:69], s[68:69], s[72:73]
	s_and_saveexec_b64 s[72:73], s[70:71]
	s_cbranch_execz .LBB4_175
; %bb.179:                              ;   in Loop: Header=BB4_176 Depth=2
	s_sleep 1
	s_trap 2
	ds_read_b64 v[12:13], v0
	s_andn2_b64 s[68:69], s[68:69], exec
	s_waitcnt lgkmcnt(0)
	v_cmp_ge_u64_e32 vcc, v[12:13], v[28:29]
	s_orn2_b64 vcc, vcc, exec
	s_branch .LBB4_175
.LBB4_180:                              ;   in Loop: Header=BB4_79 Depth=1
	s_or_b64 exec, exec, s[66:67]
	s_and_saveexec_b64 vcc, s[68:69]
	s_xor_b64 vcc, exec, vcc
	s_cbranch_execz .LBB4_182
; %bb.181:                              ;   in Loop: Header=BB4_79 Depth=1
	ds_write_b32 v0, v61
	s_trap 2
.LBB4_182:                              ;   in Loop: Header=BB4_79 Depth=1
	s_or_b64 exec, exec, s[64:65]
	;;#ASMSTART
	s_wakeup
	;;#ASMEND
.LBB4_183:                              ;   in Loop: Header=BB4_79 Depth=1
	s_or_b64 exec, exec, s[36:37]
.LBB4_184:                              ;   in Loop: Header=BB4_79 Depth=1
	s_andn2_saveexec_b64 vcc, s[34:35]
	s_cbranch_execz .LBB4_186
; %bb.185:                              ;   in Loop: Header=BB4_79 Depth=1
	s_waitcnt lgkmcnt(0)
	s_barrier
.LBB4_186:                              ;   in Loop: Header=BB4_79 Depth=1
	s_or_b64 exec, exec, vcc
.LBB4_187:                              ;   in Loop: Header=BB4_79 Depth=1
	s_or_b64 exec, exec, s[30:31]
	s_trap 2
	ds_read_b32 v10, v0
	v_and_b32_e32 v2, 0x4000, v62
	v_cmp_ne_u32_e32 vcc, 0, v2
	s_xor_b64 s[30:31], s[6:7], -1
	s_and_b64 vcc, s[30:31], vcc
	s_and_saveexec_b64 s[30:31], vcc
	s_cbranch_execz .LBB4_295
; %bb.188:                              ;   in Loop: Header=BB4_79 Depth=1
	s_and_saveexec_b64 vcc, s[46:47]
	s_xor_b64 s[34:35], exec, vcc
	s_cbranch_execz .LBB4_292
; %bb.189:                              ;   in Loop: Header=BB4_79 Depth=1
	s_and_saveexec_b64 s[36:37], s[16:17]
	s_cbranch_execz .LBB4_291
; %bb.190:                              ;   in Loop: Header=BB4_79 Depth=1
	s_mov_b64 s[66:67], exec
	v_mbcnt_lo_u32_b32 v2, s66, 0
	v_mbcnt_hi_u32_b32 v2, s67, v2
	v_cmp_eq_u32_e32 vcc, 0, v2
	s_waitcnt lgkmcnt(0)
	s_and_saveexec_b64 s[64:65], vcc
	s_cbranch_execz .LBB4_192
; %bb.191:                              ;   in Loop: Header=BB4_79 Depth=1
	s_bcnt1_i32_b64 vcc_lo, s[66:67]
	v_mov_b32_e32 v2, vcc_lo
	ds_add_u64 v0, v[2:3]
	s_trap 2
.LBB4_192:                              ;   in Loop: Header=BB4_79 Depth=1
	s_or_b64 exec, exec, s[64:65]
	s_trap 2
	ds_read_b64 v[12:13], v0
	v_lshl_add_u64 v[28:29], v[28:29], 0, v[34:35]
	s_waitcnt lgkmcnt(0)
	v_cmp_lt_u64_e32 vcc, v[12:13], v[28:29]
	s_and_saveexec_b64 s[64:65], vcc
	s_cbranch_execz .LBB4_290
; %bb.193:                              ;   in Loop: Header=BB4_79 Depth=1
	s_mov_b32 s76, 0
	s_mov_b64 s[66:67], 0
                                        ; implicit-def: $sgpr68_sgpr69
                                        ; implicit-def: $sgpr70_sgpr71
	s_branch .LBB4_195
.LBB4_194:                              ;   in Loop: Header=BB4_195 Depth=2
	s_or_b64 exec, exec, s[74:75]
	s_and_b64 vcc, exec, vcc
	s_or_b64 s[66:67], vcc, s[66:67]
	s_andn2_b64 vcc, s[68:69], exec
	s_and_b64 s[68:69], s[70:71], exec
	s_or_b64 s[68:69], vcc, s[68:69]
	s_andn2_b64 exec, exec, s[66:67]
	s_cbranch_execz .LBB4_288
.LBB4_195:                              ;   Parent Loop BB4_79 Depth=1
                                        ; =>  This Inner Loop Header: Depth=2
	s_add_i32 s76, s76, 1
	s_cmpk_lg_i32 s76, 0x2710
	s_cselect_b64 s[72:73], -1, 0
	s_and_b64 vcc, exec, s[72:73]
                                        ; implicit-def: $sgpr74_sgpr75
	s_cbranch_vccnz .LBB4_197
; %bb.196:                              ;   in Loop: Header=BB4_195 Depth=2
	s_trap 2
	ds_read_b64 v[12:13], v0
	s_andn2_b64 s[72:73], s[72:73], exec
	s_mov_b32 s76, 0
	s_mov_b64 s[74:75], -1
	s_waitcnt vmcnt(0) lgkmcnt(0)
	flat_load_dword v2, v[12:13] sc0 sc1
	s_waitcnt vmcnt(0) lgkmcnt(0)
	buffer_inv sc0 sc1
	v_cmp_eq_u32_e32 vcc, 0, v2
	s_and_b64 vcc, vcc, exec
	s_or_b64 s[72:73], s[72:73], vcc
.LBB4_197:                              ;   in Loop: Header=BB4_195 Depth=2
	s_andn2_b64 s[70:71], s[70:71], exec
	s_and_b64 s[74:75], s[74:75], exec
	s_mov_b64 vcc, -1
	s_or_b64 s[70:71], s[70:71], s[74:75]
	s_and_saveexec_b64 s[74:75], s[72:73]
	s_cbranch_execz .LBB4_194
; %bb.198:                              ;   in Loop: Header=BB4_195 Depth=2
	s_sleep 1
	s_trap 2
	ds_read_b64 v[12:13], v0
	s_andn2_b64 s[70:71], s[70:71], exec
	s_waitcnt lgkmcnt(0)
	v_cmp_ge_u64_e32 vcc, v[12:13], v[28:29]
	s_orn2_b64 vcc, vcc, exec
	s_branch .LBB4_194
.LBB4_199:                              ;   in Loop: Header=BB4_79 Depth=1
	s_or_b64 exec, exec, s[64:65]
	s_and_saveexec_b64 vcc, s[66:67]
	s_xor_b64 vcc, exec, vcc
	s_cbranch_execz .LBB4_201
; %bb.200:                              ;   in Loop: Header=BB4_79 Depth=1
	ds_write_b32 v0, v61
	s_trap 2
.LBB4_201:                              ;   in Loop: Header=BB4_79 Depth=1
	s_or_b64 exec, exec, s[62:63]
	;;#ASMSTART
	s_wakeup
	;;#ASMEND
.LBB4_202:                              ;   in Loop: Header=BB4_79 Depth=1
	s_or_b64 exec, exec, s[36:37]
.LBB4_203:                              ;   in Loop: Header=BB4_79 Depth=1
	s_andn2_saveexec_b64 vcc, s[34:35]
	s_cbranch_execz .LBB4_205
; %bb.204:                              ;   in Loop: Header=BB4_79 Depth=1
	s_waitcnt lgkmcnt(0)
	s_barrier
.LBB4_205:                              ;   in Loop: Header=BB4_79 Depth=1
	s_or_b64 exec, exec, vcc
.LBB4_206:                              ;   in Loop: Header=BB4_79 Depth=1
	s_or_b64 exec, exec, s[30:31]
	s_trap 2
	ds_read_b64 v[12:13], v0
	s_mov_b64 s[30:31], 0
	s_waitcnt lgkmcnt(0)
	v_readfirstlane_b32 vcc_lo, v12
	v_readfirstlane_b32 vcc_hi, v13
	s_cmp_eq_u64 vcc, 0
	s_cselect_b64 vcc, -1, 0
	s_or_b64 vcc, vcc, vcc
	s_and_b64 vcc, exec, vcc
	s_cbranch_vccnz .LBB4_242
; %bb.207:                              ;   in Loop: Header=BB4_79 Depth=1
	s_trap 2
	ds_read_b64 v[12:13], v0
	v_cmp_eq_u32_e64 s[30:31], 0, v10
	s_waitcnt lgkmcnt(0)
	v_cmp_ne_u64_e32 vcc, 0, v[12:13]
	v_cndmask_b32_e64 v2, 0, v58, s[30:31]
	s_cbranch_vccz .LBB4_247
; %bb.208:                              ;   in Loop: Header=BB4_79 Depth=1
	s_mov_b64 s[30:31], -1
	s_and_saveexec_b64 s[34:35], s[18:19]
	s_cbranch_execz .LBB4_210
; %bb.209:                              ;   in Loop: Header=BB4_79 Depth=1
	ds_read_b32 v10, v0 offset:720
	s_waitcnt lgkmcnt(0)
	v_and_b32_e32 v10, 15, v10
	v_cmp_eq_u32_e32 vcc, 0, v10
	s_orn2_b64 s[30:31], vcc, exec
.LBB4_210:                              ;   in Loop: Header=BB4_79 Depth=1
	s_or_b64 exec, exec, s[34:35]
	s_and_saveexec_b64 s[34:35], s[20:21]
	s_cbranch_execz .LBB4_212
; %bb.211:                              ;   in Loop: Header=BB4_79 Depth=1
	ds_read_b32 v10, v0 offset:784
	s_waitcnt lgkmcnt(0)
	v_and_b32_e32 v10, 15, v10
	v_cmp_eq_u32_e32 vcc, 0, v10
	s_and_b64 vcc, s[30:31], vcc
	s_andn2_b64 s[30:31], s[30:31], exec
	s_and_b64 vcc, vcc, exec
	s_or_b64 s[30:31], s[30:31], vcc
.LBB4_212:                              ;   in Loop: Header=BB4_79 Depth=1
	s_or_b64 exec, exec, s[34:35]
	s_xor_b64 vcc, s[30:31], -1
	v_cndmask_b32_e64 v10, 0, 1, vcc
	;;#ASMSTART
	;;#ASMEND
	s_mov_b64 s[34:35], -1
	v_cmp_ne_u32_e32 vcc, 0, v10
	v_mov_b32_e32 v16, 0
	v_mov_b32_e32 v17, v2
	;; [unrolled: 1-line block ×4, first 2 shown]
	s_cbranch_vccnz .LBB4_230
; %bb.213:                              ;   in Loop: Header=BB4_79 Depth=1
	v_accvgpr_read_b32 v10, a10
	v_sub_u32_e32 v36, v2, v10
	v_ashrrev_i32_e32 v10, 31, v2
	v_lshrrev_b32_e32 v10, 22, v10
	v_add_u32_e32 v10, v2, v10
	v_and_b32_e32 v22, 0xfffffc00, v10
	v_accvgpr_read_b32 v11, a11
	v_sub_u32_e32 v50, v2, v22
	v_ashrrev_i32_e32 v11, 10, v10
	v_cmp_lt_i32_e64 s[30:31], 15, v50
	v_accvgpr_read_b32 v10, a18
	s_nop 0
	v_addc_co_u32_e64 v31, vcc, v11, v10, s[30:31]
	v_cmp_lt_i32_e32 vcc, 15, v36
	s_and_saveexec_b64 s[62:63], vcc
	s_cbranch_execz .LBB4_219
; %bb.214:                              ;   in Loop: Header=BB4_79 Depth=1
	s_trap 2
	ds_read_b64 v[16:17], v0
	ds_read_b128 v[10:13], v0
	v_accvgpr_read_b32 v25, a11
	v_accvgpr_read_b32 v24, a10
	s_mov_b64 s[64:65], 0
	s_waitcnt lgkmcnt(0)
	v_lshl_add_u64 v[60:61], v[16:17], 0, v[24:25]
	v_lshl_add_u64 v[56:57], v[10:11], 0, v[24:25]
	;; [unrolled: 1-line block ×3, first 2 shown]
.LBB4_215:                              ;   Parent Loop BB4_79 Depth=1
                                        ; =>  This Loop Header: Depth=2
                                        ;       Child Loop BB4_216 Depth 3
	global_load_dwordx4 v[10:13], v[60:61], off nt
	s_mov_b64 s[68:69], -1
	s_mov_b64 s[66:67], 0
	s_waitcnt vmcnt(0)
.LBB4_216:                              ;   Parent Loop BB4_79 Depth=1
                                        ;     Parent Loop BB4_215 Depth=2
                                        ; =>    This Inner Loop Header: Depth=3
	s_cmp_eq_u32 s66, 0
	s_cselect_b64 s[34:35], -1, 0
	s_cmp_eq_u32 s66, 1
	v_cndmask_b32_e64 v24, 0, 1, s[68:69]
	s_cselect_b64 s[36:37], -1, 0
	v_cmp_ne_u32_e32 vcc, 1, v24
	v_cndmask_b32_e64 v25, v57, v17, s[36:37]
	v_cndmask_b32_e64 v24, v56, v16, s[36:37]
	global_store_dwordx4 v[24:25], v[10:13], off nt
	v_lshl_add_u64 v[24:25], v[24:25], 0, s[48:49]
	s_mov_b64 s[68:69], 0
	s_mov_b64 s[66:67], 1
	s_and_b64 vcc, exec, vcc
	v_cndmask_b32_e64 v17, v17, v25, s[36:37]
	v_cndmask_b32_e64 v16, v16, v24, s[36:37]
	;; [unrolled: 1-line block ×4, first 2 shown]
	s_cbranch_vccz .LBB4_216
; %bb.217:                              ;   in Loop: Header=BB4_215 Depth=2
	v_sub_u32_e32 v36, v36, v37
	v_cmp_gt_i32_e32 vcc, 16, v36
	v_lshl_add_u64 v[56:57], v[56:57], 0, v[52:53]
	v_lshl_add_u64 v[16:17], v[16:17], 0, v[52:53]
	;; [unrolled: 1-line block ×3, first 2 shown]
	s_or_b64 s[64:65], vcc, s[64:65]
	v_sub_u32_e32 v31, v31, v34
	s_andn2_b64 exec, exec, s[64:65]
	s_cbranch_execnz .LBB4_215
; %bb.218:                              ;   in Loop: Header=BB4_79 Depth=1
	s_or_b64 exec, exec, s[64:65]
	v_accvgpr_read_b32 v60, a6
	v_mov_b32_e32 v61, 1
	v_accvgpr_read_b32 v57, a16
.LBB4_219:                              ;   in Loop: Header=BB4_79 Depth=1
	s_or_b64 exec, exec, s[62:63]
	v_and_b32_e32 v11, 15, v2
	v_cndmask_b32_e64 v36, v50, v11, s[30:31]
	v_cmp_ne_u32_e32 vcc, 0, v36
	s_mov_b64 s[34:35], 0
	v_mov_b32_e32 v16, 0
                                        ; implicit-def: $vgpr17
                                        ; implicit-def: $vgpr56
                                        ; implicit-def: $vgpr10
	s_and_saveexec_b64 s[62:63], vcc
	s_cbranch_execz .LBB4_229
; %bb.220:                              ;   in Loop: Header=BB4_79 Depth=1
	v_sub_u32_e32 v10, v50, v11
	v_cndmask_b32_e64 v10, 0, v10, s[30:31]
	v_add_u32_e32 v10, v10, v22
	v_cmp_lt_i32_e32 vcc, 0, v31
	v_accvgpr_write_b32 a19, v10
	v_accvgpr_read_b32 v11, a17
	v_cndmask_b32_e32 v10, 0, v34, vcc
	v_sub_u32_e32 v10, v10, v31
	v_lshl_add_u32 v10, v10, 6, v11
	v_ashrrev_i32_e32 v11, 31, v10
	v_lshrrev_b32_e32 v11, 26, v11
	v_add_u32_e32 v11, v10, v11
	v_ashrrev_i32_e32 v12, 6, v11
	v_and_b32_e32 v11, 0xffffffc0, v11
	v_sub_u32_e32 v31, v10, v11
	v_ashrrev_i32_e32 v11, 31, v36
	v_lshrrev_b32_e32 v11, 22, v11
	v_add_u32_e32 v11, v36, v11
	v_and_b32_e32 v22, 0xfffffc00, v11
	v_lshlrev_b32_e32 v10, 4, v31
	v_sub_u32_e32 v50, v36, v22
	v_lshl_add_u32 v10, v12, 10, v10
	v_ashrrev_i32_e32 v13, 10, v11
	v_cmp_lt_i32_e64 s[30:31], 15, v50
	v_sub_u32_e32 v51, v36, v10
	s_nop 0
	v_addc_co_u32_e64 v11, vcc, 0, v13, s[30:31]
	v_sub_u32_e32 v59, v11, v12
	v_cmp_lt_i32_e32 vcc, 15, v51
	s_and_saveexec_b64 s[64:65], vcc
	s_cbranch_execz .LBB4_226
; %bb.221:                              ;   in Loop: Header=BB4_79 Depth=1
	s_trap 2
	ds_read_b64 v[12:13], v0
	ds_read_b128 v[24:27], v0
	v_accvgpr_read_b32 v11, a19
	v_add_u32_e32 v10, v10, v11
	v_ashrrev_i32_e32 v11, 31, v10
	s_waitcnt lgkmcnt(0)
	v_lshl_add_u64 v[60:61], v[12:13], 0, v[10:11]
	v_lshl_add_u64 v[56:57], v[24:25], 0, v[10:11]
	;; [unrolled: 1-line block ×3, first 2 shown]
	s_mov_b64 s[66:67], 0
.LBB4_222:                              ;   Parent Loop BB4_79 Depth=1
                                        ; =>  This Loop Header: Depth=2
                                        ;       Child Loop BB4_223 Depth 3
	global_load_dwordx4 v[10:13], v[60:61], off nt
	s_mov_b64 s[70:71], -1
	s_mov_b64 s[68:69], 0
	s_waitcnt vmcnt(0)
.LBB4_223:                              ;   Parent Loop BB4_79 Depth=1
                                        ;     Parent Loop BB4_222 Depth=2
                                        ; =>    This Inner Loop Header: Depth=3
	s_cmp_eq_u32 s68, 0
	s_cselect_b64 s[34:35], -1, 0
	s_cmp_eq_u32 s68, 1
	v_cndmask_b32_e64 v24, 0, 1, s[70:71]
	s_cselect_b64 s[36:37], -1, 0
	v_cmp_ne_u32_e32 vcc, 1, v24
	v_cndmask_b32_e64 v25, v57, v17, s[36:37]
	v_cndmask_b32_e64 v24, v56, v16, s[36:37]
	global_store_dwordx4 v[24:25], v[10:13], off nt
	v_lshl_add_u64 v[24:25], v[24:25], 0, s[48:49]
	s_mov_b64 s[70:71], 0
	s_mov_b64 s[68:69], 1
	s_and_b64 vcc, exec, vcc
	v_cndmask_b32_e64 v17, v17, v25, s[36:37]
	v_cndmask_b32_e64 v16, v16, v24, s[36:37]
	;; [unrolled: 1-line block ×4, first 2 shown]
	s_cbranch_vccz .LBB4_223
; %bb.224:                              ;   in Loop: Header=BB4_222 Depth=2
	v_sub_u32_e32 v51, v51, v37
	v_cmp_gt_i32_e32 vcc, 16, v51
	v_lshl_add_u64 v[56:57], v[56:57], 0, v[52:53]
	v_lshl_add_u64 v[16:17], v[16:17], 0, v[52:53]
	;; [unrolled: 1-line block ×3, first 2 shown]
	s_or_b64 s[66:67], vcc, s[66:67]
	v_sub_u32_e32 v59, v59, v34
	s_andn2_b64 exec, exec, s[66:67]
	s_cbranch_execnz .LBB4_222
; %bb.225:                              ;   in Loop: Header=BB4_79 Depth=1
	s_or_b64 exec, exec, s[66:67]
	v_accvgpr_read_b32 v60, a6
	v_mov_b32_e32 v61, 1
	v_accvgpr_read_b32 v57, a16
.LBB4_226:                              ;   in Loop: Header=BB4_79 Depth=1
	s_or_b64 exec, exec, s[64:65]
	v_and_b32_e32 v11, 15, v36
	v_cndmask_b32_e64 v17, v50, v11, s[30:31]
	v_cmp_ne_u32_e32 vcc, 0, v17
	s_mov_b64 s[34:35], 0
	v_mov_b32_e32 v16, 0
                                        ; implicit-def: $vgpr56
                                        ; implicit-def: $vgpr10
	s_and_saveexec_b64 s[36:37], vcc
	s_cbranch_execz .LBB4_228
; %bb.227:                              ;   in Loop: Header=BB4_79 Depth=1
	v_sub_u32_e32 v10, v50, v11
	v_cndmask_b32_e64 v10, 0, v10, s[30:31]
	v_accvgpr_read_b32 v11, a19
	v_cmp_lt_i32_e32 vcc, 0, v59
	v_add3_u32 v16, v22, v11, v10
	s_mov_b64 s[34:35], exec
	v_cndmask_b32_e32 v10, 0, v34, vcc
	v_sub_u32_e32 v10, v10, v59
	v_lshl_add_u32 v56, v10, 6, v31
	v_ashrrev_i32_e32 v10, 31, v56
	v_lshrrev_b32_e32 v10, 26, v10
	v_add_u32_e32 v10, v56, v10
	v_ashrrev_i32_e32 v10, 6, v10
.LBB4_228:                              ;   in Loop: Header=BB4_79 Depth=1
	s_or_b64 exec, exec, s[36:37]
	s_and_b64 s[34:35], s[34:35], exec
.LBB4_229:                              ;   in Loop: Header=BB4_79 Depth=1
	s_or_b64 exec, exec, s[62:63]
	v_accvgpr_read_b32 v51, a15
	v_accvgpr_read_b32 v50, a14
.LBB4_230:                              ;   in Loop: Header=BB4_79 Depth=1
	s_and_saveexec_b64 s[36:37], s[34:35]
	s_cbranch_execz .LBB4_241
; %bb.231:                              ;   in Loop: Header=BB4_79 Depth=1
	v_ashrrev_i32_e32 v11, 31, v17
	v_lshrrev_b32_e32 v11, 23, v11
	v_add_u32_e32 v11, v17, v11
	v_ashrrev_i32_e32 v57, 9, v11
	v_sub_u32_e32 v36, v57, v10
	v_ashrrev_i32_e32 v11, 31, v56
	v_cmp_lt_i32_e32 vcc, 0, v36
	v_lshrrev_b32_e32 v31, 26, v11
	s_and_saveexec_b64 s[30:31], vcc
	s_cbranch_execz .LBB4_235
; %bb.232:                              ;   in Loop: Header=BB4_79 Depth=1
	s_trap 2
	v_add_u32_e32 v11, v56, v31
	ds_read_b64 v[50:51], v0
	ds_read_b128 v[24:27], v0
	v_and_b32_e32 v11, 0xffffffc0, v11
	v_sub_u32_e32 v11, v56, v11
	v_lshlrev_b32_e32 v10, 9, v10
	v_add3_u32 v54, v16, v11, v10
	v_ashrrev_i32_e32 v55, 31, v54
	s_waitcnt lgkmcnt(0)
	v_lshl_add_u64 v[10:11], v[24:25], 0, v[54:55]
	v_lshl_add_u64 v[24:25], v[50:51], 0, s[50:51]
	;; [unrolled: 1-line block ×4, first 2 shown]
	s_mov_b64 s[34:35], 0
.LBB4_233:                              ;   Parent Loop BB4_79 Depth=1
                                        ; =>  This Inner Loop Header: Depth=2
	v_add_co_u32_e32 v24, vcc, 0xfffffe40, v60
	flat_load_ubyte v22, v[60:61] nt
	s_nop 0
	v_addc_co_u32_e32 v25, vcc, -1, v61, vcc
	v_add_co_u32_e32 v26, vcc, 0xfffffe80, v60
	flat_load_ubyte v50, v[24:25] nt
	s_nop 0
	v_addc_co_u32_e32 v27, vcc, -1, v61, vcc
	v_add_co_u32_e32 v24, vcc, 0xfffffec0, v60
	flat_load_ubyte v51, v[26:27] nt
	s_nop 0
	v_addc_co_u32_e32 v25, vcc, -1, v61, vcc
	v_add_co_u32_e32 v26, vcc, 0xffffff00, v60
	flat_load_ubyte v54, v[24:25] nt
	s_nop 0
	v_addc_co_u32_e32 v27, vcc, -1, v61, vcc
	v_add_co_u32_e32 v24, vcc, 0xffffff40, v60
	flat_load_ubyte v55, v[26:27] nt
	s_nop 0
	v_addc_co_u32_e32 v25, vcc, -1, v61, vcc
	v_add_co_u32_e32 v26, vcc, 0xffffff80, v60
	flat_load_ubyte v59, v[24:25] nt
	s_nop 0
	v_addc_co_u32_e32 v27, vcc, -1, v61, vcc
	v_add_co_u32_e32 v24, vcc, s80, v60
	flat_load_ubyte v26, v[26:27] nt
	s_nop 0
	v_addc_co_u32_e32 v25, vcc, -1, v61, vcc
	flat_load_ubyte v24, v[24:25] nt
	v_sub_u32_e32 v36, v36, v34
	v_cmp_gt_i32_e32 vcc, 1, v36
	s_or_b64 s[34:35], vcc, s[34:35]
	v_lshl_add_u64 v[60:61], v[60:61], 0, v[40:41]
	s_waitcnt vmcnt(0) lgkmcnt(0)
	flat_store_byte v[10:11], v22 offset:448 nt
	flat_store_byte v[10:11], v50 nt
	flat_store_byte v[10:11], v51 offset:64 nt
	flat_store_byte v[10:11], v54 offset:128 nt
	;; [unrolled: 1-line block ×6, first 2 shown]
	flat_store_byte v[12:13], v50 nt
	flat_store_byte v[12:13], v51 offset:64 nt
	flat_store_byte v[12:13], v54 offset:128 nt
	;; [unrolled: 1-line block ×7, first 2 shown]
	v_lshl_add_u64 v[10:11], v[10:11], 0, v[40:41]
	v_lshl_add_u64 v[12:13], v[12:13], 0, v[40:41]
	s_andn2_b64 exec, exec, s[34:35]
	s_cbranch_execnz .LBB4_233
; %bb.234:                              ;   in Loop: Header=BB4_79 Depth=1
	s_or_b64 exec, exec, s[34:35]
	v_accvgpr_read_b32 v55, a9
	v_accvgpr_read_b32 v51, a15
	v_accvgpr_read_b32 v60, a6
	v_accvgpr_read_b32 v54, a8
	v_mov_b32_e32 v61, 1
	v_accvgpr_read_b32 v50, a14
.LBB4_235:                              ;   in Loop: Header=BB4_79 Depth=1
	s_or_b64 exec, exec, s[30:31]
	v_lshlrev_b32_e32 v10, 9, v57
	v_cmp_ne_u32_e32 vcc, v17, v10
	s_and_b64 vcc, exec, vcc
	v_accvgpr_read_b32 v57, a16
	s_mov_b64 exec, vcc
	s_cbranch_execz .LBB4_241
; %bb.236:                              ;   in Loop: Header=BB4_79 Depth=1
	v_add_u32_e32 v11, v56, v31
	v_and_b32_e32 v11, 0xffffffc0, v11
	v_sub_u32_e32 v11, v56, v11
	v_lshlrev_b32_e32 v12, 6, v36
	v_sub_u32_e32 v11, v11, v12
	v_add_u32_e32 v10, v10, v11
	v_sub_u32_e32 v22, v17, v10
	v_cmp_lt_i32_e32 vcc, 0, v22
	s_and_b64 exec, exec, vcc
	s_cbranch_execz .LBB4_241
; %bb.237:                              ;   in Loop: Header=BB4_79 Depth=1
	s_trap 2
	ds_read_b64 v[12:13], v0
	ds_read_b128 v[24:27], v0
	v_add_u32_e32 v16, v10, v16
	v_ashrrev_i32_e32 v17, 31, v16
	s_mov_b64 s[62:63], 0
	s_waitcnt lgkmcnt(0)
	v_lshl_add_u64 v[10:11], v[12:13], 0, v[16:17]
	v_lshl_add_u64 v[12:13], v[24:25], 0, v[16:17]
	;; [unrolled: 1-line block ×3, first 2 shown]
.LBB4_238:                              ;   Parent Loop BB4_79 Depth=1
                                        ; =>  This Loop Header: Depth=2
                                        ;       Child Loop BB4_239 Depth 3
	flat_load_ubyte v31, v[10:11] nt
	s_mov_b64 s[64:65], -1
	s_mov_b64 s[66:67], 0
	s_waitcnt vmcnt(0)
.LBB4_239:                              ;   Parent Loop BB4_79 Depth=1
                                        ;     Parent Loop BB4_238 Depth=2
                                        ; =>    This Inner Loop Header: Depth=3
	s_cmp_eq_u32 s66, 1
	s_cselect_b64 vcc, -1, 0
	v_cndmask_b32_e32 v25, v13, v17, vcc
	s_cmp_eq_u32 s66, 0
	v_cndmask_b32_e32 v24, v12, v16, vcc
	s_waitcnt lgkmcnt(0)
	flat_store_byte v[24:25], v31 nt
	v_lshl_add_u64 v[24:25], v[24:25], 0, 64
	s_cselect_b64 s[30:31], -1, 0
	s_and_b64 s[34:35], exec, s[64:65]
	s_mov_b64 s[66:67], 1
	s_mov_b64 s[64:65], 0
	v_cndmask_b32_e32 v17, v17, v25, vcc
	v_cndmask_b32_e32 v16, v16, v24, vcc
	v_cndmask_b32_e64 v13, v13, v25, s[30:31]
	v_cndmask_b32_e64 v12, v12, v24, s[30:31]
	s_mov_b64 vcc, s[34:35]
	s_cbranch_vccnz .LBB4_239
; %bb.240:                              ;   in Loop: Header=BB4_238 Depth=2
	v_accvgpr_read_b32 v25, a13
	v_sub_u32_e32 v22, v22, v1
	v_accvgpr_read_b32 v24, a12
	v_cmp_gt_i32_e32 vcc, 1, v22
	v_lshl_add_u64 v[12:13], v[12:13], 0, v[24:25]
	v_lshl_add_u64 v[16:17], v[16:17], 0, v[24:25]
	s_or_b64 s[62:63], vcc, s[62:63]
	v_lshl_add_u64 v[10:11], v[42:43], 0, v[10:11]
	s_andn2_b64 exec, exec, s[62:63]
	s_cbranch_execnz .LBB4_238
.LBB4_241:                              ;   in Loop: Header=BB4_79 Depth=1
	s_or_b64 exec, exec, s[36:37]
	s_branch .LBB4_276
.LBB4_242:                              ;   in Loop: Header=BB4_79 Depth=1
	s_and_saveexec_b64 s[34:35], s[10:11]
	s_cbranch_execnz .LBB4_277
.LBB4_243:                              ;   in Loop: Header=BB4_79 Depth=1
	s_or_b64 exec, exec, s[34:35]
                                        ; implicit-def: $vgpr2
	s_and_saveexec_b64 vcc, s[24:25]
	s_xor_b64 s[34:35], exec, vcc
	s_cbranch_execz .LBB4_385
.LBB4_244:                              ;   in Loop: Header=BB4_79 Depth=1
	v_and_b32_e32 v10, 16, v62
	v_cmp_ne_u32_e32 vcc, 0, v10
	v_and_b32_e32 v2, 16, v62
	s_and_b64 s[30:31], vcc, s[30:31]
	s_and_saveexec_b64 vcc, s[30:31]
	s_cbranch_execz .LBB4_246
; %bb.245:                              ;   in Loop: Header=BB4_79 Depth=1
	v_mov_b32_e32 v2, 1
	buffer_wbl2 sc1
	s_waitcnt vmcnt(0) lgkmcnt(0)
	buffer_inv sc1
.LBB4_246:                              ;   in Loop: Header=BB4_79 Depth=1
	s_or_b64 exec, exec, vcc
	s_andn2_saveexec_b64 s[30:31], s[34:35]
	s_cbranch_execz .LBB4_423
	s_branch .LBB4_386
.LBB4_247:                              ;   in Loop: Header=BB4_79 Depth=1
	s_cbranch_execz .LBB4_276
; %bb.248:                              ;   in Loop: Header=BB4_79 Depth=1
	s_mov_b64 s[30:31], -1
	s_and_saveexec_b64 s[34:35], s[18:19]
	s_cbranch_execz .LBB4_250
; %bb.249:                              ;   in Loop: Header=BB4_79 Depth=1
	ds_read_b32 v10, v0 offset:720
	s_waitcnt lgkmcnt(0)
	v_and_b32_e32 v10, 15, v10
	v_cmp_eq_u32_e32 vcc, 0, v10
	s_orn2_b64 s[30:31], vcc, exec
.LBB4_250:                              ;   in Loop: Header=BB4_79 Depth=1
	s_or_b64 exec, exec, s[34:35]
	s_and_saveexec_b64 s[34:35], s[22:23]
	s_cbranch_execz .LBB4_252
; %bb.251:                              ;   in Loop: Header=BB4_79 Depth=1
	ds_read_b32 v10, v0 offset:784
	s_waitcnt lgkmcnt(0)
	v_and_b32_e32 v10, 15, v10
	v_cmp_eq_u32_e32 vcc, 0, v10
	s_and_b64 vcc, s[30:31], vcc
	s_andn2_b64 s[30:31], s[30:31], exec
	s_and_b64 vcc, vcc, exec
	s_or_b64 s[30:31], s[30:31], vcc
.LBB4_252:                              ;   in Loop: Header=BB4_79 Depth=1
	s_or_b64 exec, exec, s[34:35]
	s_xor_b64 vcc, s[30:31], -1
	v_cndmask_b32_e64 v10, 0, 1, vcc
	s_mov_b64 s[36:37], -1
	;;#ASMSTART
	;;#ASMEND
	v_mov_b32_e32 v31, 0
	v_cmp_ne_u32_e32 vcc, 0, v10
	v_mov_b32_e32 v36, v2
	v_mov_b32_e32 v22, v0
	;; [unrolled: 1-line block ×3, first 2 shown]
	s_cbranch_vccnz .LBB4_266
; %bb.253:                              ;   in Loop: Header=BB4_79 Depth=1
	v_ashrrev_i32_e32 v10, 31, v2
	v_lshrrev_b32_e32 v10, 21, v10
	v_add_u32_e32 v10, v2, v10
	v_ashrrev_i32_e32 v16, 11, v10
	v_sub_u32_e32 v17, v16, v57
	v_cmp_lt_i32_e32 vcc, 0, v17
	s_and_saveexec_b64 s[30:31], vcc
	s_cbranch_execz .LBB4_257
; %bb.254:                              ;   in Loop: Header=BB4_79 Depth=1
	s_trap 2
	ds_read_b64 v[10:11], v0
	v_accvgpr_read_b32 v12, a20
	s_mov_b64 s[34:35], 0
	v_accvgpr_read_b32 v13, a21
.LBB4_255:                              ;   Parent Loop BB4_79 Depth=1
                                        ; =>  This Inner Loop Header: Depth=2
	s_waitcnt lgkmcnt(0)
	v_lshl_add_u64 v[50:51], v[10:11], 0, v[12:13]
	global_load_dwordx4 v[24:27], v[50:51], off nt
	global_load_dwordx4 v[54:57], v[50:51], off offset:1024 nt
	v_sub_u32_e32 v17, v17, v34
	v_cmp_gt_i32_e32 vcc, 1, v17
	v_lshl_add_u64 v[12:13], v[12:13], 0, v[44:45]
	s_or_b64 s[34:35], vcc, s[34:35]
	s_waitcnt vmcnt(0)
	global_store_dwordx4 v[50:51], v[24:27], off nt
	global_store_dwordx4 v[50:51], v[54:57], off offset:1024 nt
	s_andn2_b64 exec, exec, s[34:35]
	s_cbranch_execnz .LBB4_255
; %bb.256:                              ;   in Loop: Header=BB4_79 Depth=1
	s_or_b64 exec, exec, s[34:35]
	v_accvgpr_read_b32 v55, a9
	v_accvgpr_read_b32 v54, a8
	v_accvgpr_read_b32 v57, a16
.LBB4_257:                              ;   in Loop: Header=BB4_79 Depth=1
	s_or_b64 exec, exec, s[30:31]
	v_lshlrev_b32_e32 v16, 11, v16
	v_cmp_ne_u32_e32 vcc, v2, v16
	s_mov_b64 s[36:37], 0
	v_mov_b32_e32 v31, 0
                                        ; implicit-def: $vgpr36
                                        ; implicit-def: $vgpr22
                                        ; implicit-def: $vgpr12
	s_and_saveexec_b64 s[34:35], vcc
	s_cbranch_execz .LBB4_265
; %bb.258:                              ;   in Loop: Header=BB4_79 Depth=1
	v_lshlrev_b32_e32 v11, 6, v17
	v_accvgpr_read_b32 v12, a17
	v_sub_u32_e32 v11, v12, v11
	v_ashrrev_i32_e32 v12, 31, v11
	v_lshrrev_b32_e32 v12, 26, v12
	v_add_u32_e32 v12, v11, v12
	v_ashrrev_i32_e32 v13, 6, v12
	v_and_b32_e32 v12, 0xffffffc0, v12
	v_sub_u32_e32 v17, v11, v12
	v_sub_u32_e32 v10, v2, v16
	v_lshlrev_b32_e32 v11, 4, v17
	v_lshl_add_u32 v12, v13, 10, v11
	v_ashrrev_i32_e32 v11, 31, v10
	v_lshrrev_b32_e32 v11, 22, v11
	v_add_u32_e32 v11, v10, v11
	v_and_b32_e32 v50, 0xfffffc00, v11
	v_sub_u32_e32 v56, v10, v50
	v_ashrrev_i32_e32 v24, 10, v11
	v_cmp_lt_i32_e32 vcc, 15, v56
	v_sub_u32_e32 v22, v10, v12
	s_nop 0
	v_addc_co_u32_e64 v10, s[30:31], 0, v24, vcc
	v_sub_u32_e32 v51, v10, v13
	v_cmp_lt_i32_e64 s[30:31], 15, v22
	s_and_saveexec_b64 s[36:37], s[30:31]
	s_cbranch_execz .LBB4_262
; %bb.259:                              ;   in Loop: Header=BB4_79 Depth=1
	s_trap 2
	ds_read_b64 v[10:11], v0
	v_add_u32_e32 v12, v12, v16
	v_ashrrev_i32_e32 v13, 31, v12
	s_mov_b64 s[62:63], 0
.LBB4_260:                              ;   Parent Loop BB4_79 Depth=1
                                        ; =>  This Inner Loop Header: Depth=2
	s_waitcnt lgkmcnt(0)
	v_lshl_add_u64 v[54:55], v[10:11], 0, v[12:13]
	global_load_dwordx4 v[24:27], v[54:55], off nt
	v_sub_u32_e32 v22, v22, v37
	v_cmp_gt_i32_e64 s[30:31], 16, v22
	v_sub_u32_e32 v51, v51, v34
	v_lshl_add_u64 v[12:13], v[12:13], 0, v[46:47]
	s_or_b64 s[62:63], s[30:31], s[62:63]
	s_waitcnt vmcnt(0)
	global_store_dwordx4 v[54:55], v[24:27], off nt
	s_andn2_b64 exec, exec, s[62:63]
	s_cbranch_execnz .LBB4_260
; %bb.261:                              ;   in Loop: Header=BB4_79 Depth=1
	s_or_b64 exec, exec, s[62:63]
	v_accvgpr_read_b32 v55, a9
	v_accvgpr_read_b32 v54, a8
.LBB4_262:                              ;   in Loop: Header=BB4_79 Depth=1
	s_or_b64 exec, exec, s[36:37]
	v_and_b32_e32 v10, 15, v2
	v_cndmask_b32_e32 v36, v56, v10, vcc
	v_cmp_ne_u32_e64 s[30:31], 0, v36
	s_mov_b64 s[36:37], 0
	v_mov_b32_e32 v31, 0
                                        ; implicit-def: $vgpr22
                                        ; implicit-def: $vgpr12
	s_and_saveexec_b64 s[62:63], s[30:31]
	s_cbranch_execz .LBB4_264
; %bb.263:                              ;   in Loop: Header=BB4_79 Depth=1
	v_sub_u32_e32 v10, v56, v10
	v_cndmask_b32_e32 v10, 0, v10, vcc
	v_cmp_lt_i32_e32 vcc, 0, v51
	v_add3_u32 v31, v50, v16, v10
	s_mov_b64 s[36:37], exec
	v_cndmask_b32_e32 v10, 0, v34, vcc
	v_sub_u32_e32 v10, v10, v51
	v_lshl_add_u32 v22, v10, 6, v17
	v_ashrrev_i32_e32 v10, 31, v22
	v_lshrrev_b32_e32 v10, 26, v10
	v_add_u32_e32 v10, v22, v10
	v_ashrrev_i32_e32 v12, 6, v10
.LBB4_264:                              ;   in Loop: Header=BB4_79 Depth=1
	s_or_b64 exec, exec, s[62:63]
	s_and_b64 s[36:37], s[36:37], exec
.LBB4_265:                              ;   in Loop: Header=BB4_79 Depth=1
	s_or_b64 exec, exec, s[34:35]
.LBB4_266:                              ;   in Loop: Header=BB4_79 Depth=1
	s_and_saveexec_b64 s[30:31], s[36:37]
	s_cbranch_execz .LBB4_275
; %bb.267:                              ;   in Loop: Header=BB4_79 Depth=1
	v_ashrrev_i32_e32 v10, 31, v36
	v_lshrrev_b32_e32 v10, 23, v10
	v_add_u32_e32 v10, v36, v10
	v_ashrrev_i32_e32 v56, 9, v10
	v_sub_u32_e32 v50, v56, v12
	v_ashrrev_i32_e32 v10, 31, v22
	v_cmp_lt_i32_e32 vcc, 0, v50
	v_lshrrev_b32_e32 v51, 26, v10
	s_and_saveexec_b64 s[34:35], vcc
	s_cbranch_execz .LBB4_271
; %bb.268:                              ;   in Loop: Header=BB4_79 Depth=1
	s_trap 2
	ds_read_b64 v[10:11], v0
	v_add_u32_e32 v13, v22, v51
	v_and_b32_e32 v13, 0xffffffc0, v13
	v_sub_u32_e32 v13, v22, v13
	v_lshlrev_b32_e32 v12, 9, v12
	v_add3_u32 v12, v31, v13, v12
	v_ashrrev_i32_e32 v13, 31, v12
	s_mov_b64 s[36:37], 0
	s_waitcnt lgkmcnt(0)
	v_mov_b64_e32 v[16:17], v[10:11]
.LBB4_269:                              ;   Parent Loop BB4_79 Depth=1
                                        ; =>  This Inner Loop Header: Depth=2
	v_lshl_add_u64 v[24:25], v[12:13], 0, v[16:17]
	flat_load_ubyte v26, v[24:25] nt
	flat_load_ubyte v27, v[24:25] offset:64 nt
	flat_load_ubyte v54, v[24:25] offset:128 nt
	;; [unrolled: 1-line block ×7, first 2 shown]
	v_sub_u32_e32 v50, v50, v34
	v_cmp_gt_i32_e32 vcc, 1, v50
	v_lshl_add_u64 v[24:25], v[12:13], 0, v[10:11]
	v_lshl_add_u64 v[16:17], v[16:17], 0, v[40:41]
	;; [unrolled: 1-line block ×3, first 2 shown]
	s_or_b64 s[36:37], vcc, s[36:37]
	s_waitcnt vmcnt(0) lgkmcnt(0)
	flat_store_byte v[24:25], v26 nt
	flat_store_byte v[24:25], v27 offset:64 nt
	flat_store_byte v[24:25], v54 offset:128 nt
	;; [unrolled: 1-line block ×7, first 2 shown]
	s_andn2_b64 exec, exec, s[36:37]
	s_cbranch_execnz .LBB4_269
; %bb.270:                              ;   in Loop: Header=BB4_79 Depth=1
	s_or_b64 exec, exec, s[36:37]
	v_accvgpr_read_b32 v55, a9
	v_accvgpr_read_b32 v60, a6
	;; [unrolled: 1-line block ×3, first 2 shown]
	v_mov_b32_e32 v61, 1
	v_accvgpr_read_b32 v57, a16
.LBB4_271:                              ;   in Loop: Header=BB4_79 Depth=1
	s_or_b64 exec, exec, s[34:35]
	v_lshlrev_b32_e32 v10, 9, v56
	v_cmp_ne_u32_e32 vcc, v36, v10
	s_and_b64 exec, exec, vcc
	s_cbranch_execz .LBB4_275
; %bb.272:                              ;   in Loop: Header=BB4_79 Depth=1
	v_add_u32_e32 v11, v22, v51
	v_and_b32_e32 v11, 0xffffffc0, v11
	v_sub_u32_e32 v11, v22, v11
	v_lshlrev_b32_e32 v12, 6, v50
	v_sub_u32_e32 v11, v11, v12
	v_add_u32_e32 v12, v10, v11
	v_sub_u32_e32 v16, v36, v12
	v_cmp_lt_i32_e32 vcc, 0, v16
	s_and_b64 exec, exec, vcc
	s_cbranch_execz .LBB4_275
; %bb.273:                              ;   in Loop: Header=BB4_79 Depth=1
	s_trap 2
	ds_read_b64 v[10:11], v0
	v_add_u32_e32 v12, v12, v31
	v_ashrrev_i32_e32 v13, 31, v12
	s_mov_b64 s[34:35], 0
.LBB4_274:                              ;   Parent Loop BB4_79 Depth=1
                                        ; =>  This Inner Loop Header: Depth=2
	s_waitcnt lgkmcnt(0)
	v_lshl_add_u64 v[24:25], v[10:11], 0, v[12:13]
	flat_load_ubyte v17, v[24:25] nt
	v_sub_u32_e32 v16, v16, v1
	v_cmp_gt_i32_e32 vcc, 1, v16
	v_lshl_add_u64 v[12:13], v[12:13], 0, v[42:43]
	s_or_b64 s[34:35], vcc, s[34:35]
	s_waitcnt vmcnt(0) lgkmcnt(0)
	flat_store_byte v[24:25], v17 nt
	s_andn2_b64 exec, exec, s[34:35]
	s_cbranch_execnz .LBB4_274
.LBB4_275:                              ;   in Loop: Header=BB4_79 Depth=1
	s_or_b64 exec, exec, s[30:31]
	v_accvgpr_read_b32 v51, a15
	v_accvgpr_read_b32 v50, a14
.LBB4_276:                              ;   in Loop: Header=BB4_79 Depth=1
	v_cmp_lt_i32_e64 s[30:31], 0, v2
	s_and_saveexec_b64 s[34:35], s[10:11]
	s_cbranch_execz .LBB4_243
.LBB4_277:                              ;   in Loop: Header=BB4_79 Depth=1
	s_and_saveexec_b64 vcc, s[46:47]
	s_xor_b64 s[36:37], exec, vcc
	s_cbranch_execz .LBB4_382
; %bb.278:                              ;   in Loop: Header=BB4_79 Depth=1
	s_and_saveexec_b64 s[62:63], s[16:17]
	s_cbranch_execz .LBB4_381
; %bb.279:                              ;   in Loop: Header=BB4_79 Depth=1
	s_mov_b64 s[66:67], exec
	v_mbcnt_lo_u32_b32 v2, s66, 0
	v_mbcnt_hi_u32_b32 v2, s67, v2
	v_cmp_eq_u32_e32 vcc, 0, v2
	s_waitcnt lgkmcnt(0)
	s_and_saveexec_b64 s[64:65], vcc
	s_cbranch_execz .LBB4_281
; %bb.280:                              ;   in Loop: Header=BB4_79 Depth=1
	s_bcnt1_i32_b64 vcc_lo, s[66:67]
	v_mov_b32_e32 v2, vcc_lo
	ds_add_u64 v0, v[2:3]
	s_trap 2
.LBB4_281:                              ;   in Loop: Header=BB4_79 Depth=1
	s_or_b64 exec, exec, s[64:65]
	s_trap 2
	ds_read_b64 v[10:11], v0
	v_lshl_add_u64 v[28:29], v[28:29], 0, v[34:35]
	s_waitcnt lgkmcnt(0)
	v_cmp_lt_u64_e32 vcc, v[10:11], v[28:29]
	s_and_saveexec_b64 s[64:65], vcc
	s_cbranch_execz .LBB4_380
; %bb.282:                              ;   in Loop: Header=BB4_79 Depth=1
	s_mov_b32 s76, 0
	s_mov_b64 s[66:67], 0
                                        ; implicit-def: $sgpr68_sgpr69
                                        ; implicit-def: $sgpr70_sgpr71
	s_branch .LBB4_284
.LBB4_283:                              ;   in Loop: Header=BB4_284 Depth=2
	s_or_b64 exec, exec, s[74:75]
	s_and_b64 vcc, exec, vcc
	s_or_b64 s[66:67], vcc, s[66:67]
	s_andn2_b64 vcc, s[68:69], exec
	s_and_b64 s[68:69], s[70:71], exec
	s_or_b64 s[68:69], vcc, s[68:69]
	s_andn2_b64 exec, exec, s[66:67]
	s_cbranch_execz .LBB4_378
.LBB4_284:                              ;   Parent Loop BB4_79 Depth=1
                                        ; =>  This Inner Loop Header: Depth=2
	s_add_i32 s76, s76, 1
	s_cmpk_lg_i32 s76, 0x2710
	s_cselect_b64 s[72:73], -1, 0
	s_and_b64 vcc, exec, s[72:73]
                                        ; implicit-def: $sgpr74_sgpr75
	s_cbranch_vccnz .LBB4_286
; %bb.285:                              ;   in Loop: Header=BB4_284 Depth=2
	s_trap 2
	ds_read_b64 v[10:11], v0
	s_andn2_b64 s[72:73], s[72:73], exec
	s_mov_b32 s76, 0
	s_mov_b64 s[74:75], -1
	s_waitcnt vmcnt(0) lgkmcnt(0)
	flat_load_dword v2, v[10:11] sc0 sc1
	s_waitcnt vmcnt(0) lgkmcnt(0)
	buffer_inv sc0 sc1
	v_cmp_eq_u32_e32 vcc, 0, v2
	s_and_b64 vcc, vcc, exec
	s_or_b64 s[72:73], s[72:73], vcc
.LBB4_286:                              ;   in Loop: Header=BB4_284 Depth=2
	s_andn2_b64 s[70:71], s[70:71], exec
	s_and_b64 s[74:75], s[74:75], exec
	s_mov_b64 vcc, -1
	s_or_b64 s[70:71], s[70:71], s[74:75]
	s_and_saveexec_b64 s[74:75], s[72:73]
	s_cbranch_execz .LBB4_283
; %bb.287:                              ;   in Loop: Header=BB4_284 Depth=2
	s_sleep 1
	s_trap 2
	ds_read_b64 v[10:11], v0
	s_andn2_b64 s[70:71], s[70:71], exec
	s_waitcnt lgkmcnt(0)
	v_cmp_ge_u64_e32 vcc, v[10:11], v[28:29]
	s_orn2_b64 vcc, vcc, exec
	s_branch .LBB4_283
.LBB4_288:                              ;   in Loop: Header=BB4_79 Depth=1
	s_or_b64 exec, exec, s[66:67]
	s_and_saveexec_b64 vcc, s[68:69]
	s_xor_b64 vcc, exec, vcc
	s_cbranch_execz .LBB4_290
; %bb.289:                              ;   in Loop: Header=BB4_79 Depth=1
	ds_write_b32 v0, v61
	s_trap 2
.LBB4_290:                              ;   in Loop: Header=BB4_79 Depth=1
	s_or_b64 exec, exec, s[64:65]
	;;#ASMSTART
	s_wakeup
	;;#ASMEND
.LBB4_291:                              ;   in Loop: Header=BB4_79 Depth=1
	s_or_b64 exec, exec, s[36:37]
.LBB4_292:                              ;   in Loop: Header=BB4_79 Depth=1
	s_andn2_saveexec_b64 vcc, s[34:35]
	s_cbranch_execz .LBB4_294
; %bb.293:                              ;   in Loop: Header=BB4_79 Depth=1
	s_waitcnt lgkmcnt(0)
	s_barrier
.LBB4_294:                              ;   in Loop: Header=BB4_79 Depth=1
	s_or_b64 exec, exec, vcc
.LBB4_295:                              ;   in Loop: Header=BB4_79 Depth=1
	s_or_b64 exec, exec, s[30:31]
	s_trap 2
	ds_read_b64 v[12:13], v0
	s_mov_b64 s[30:31], 0
	s_waitcnt lgkmcnt(0)
	v_readfirstlane_b32 vcc_lo, v12
	v_readfirstlane_b32 vcc_hi, v13
	s_cmp_eq_u64 vcc, 0
	s_cselect_b64 vcc, -1, 0
	s_or_b64 vcc, vcc, vcc
	s_and_b64 vcc, exec, vcc
	s_cbranch_vccnz .LBB4_331
; %bb.296:                              ;   in Loop: Header=BB4_79 Depth=1
	s_trap 2
	ds_read_b64 v[12:13], v0
	v_cmp_eq_u32_e64 s[30:31], 0, v10
	s_waitcnt lgkmcnt(0)
	v_cmp_ne_u64_e32 vcc, 0, v[12:13]
	v_cndmask_b32_e64 v2, 0, v58, s[30:31]
	s_cbranch_vccz .LBB4_337
; %bb.297:                              ;   in Loop: Header=BB4_79 Depth=1
	s_mov_b64 s[30:31], -1
	s_and_saveexec_b64 s[34:35], s[22:23]
	s_cbranch_execz .LBB4_299
; %bb.298:                              ;   in Loop: Header=BB4_79 Depth=1
	ds_read_b32 v10, v0 offset:720
	s_waitcnt lgkmcnt(0)
	v_and_b32_e32 v10, 15, v10
	v_cmp_eq_u32_e32 vcc, 0, v10
	s_orn2_b64 s[30:31], vcc, exec
.LBB4_299:                              ;   in Loop: Header=BB4_79 Depth=1
	s_or_b64 exec, exec, s[34:35]
	s_and_saveexec_b64 s[34:35], s[20:21]
	s_cbranch_execz .LBB4_301
; %bb.300:                              ;   in Loop: Header=BB4_79 Depth=1
	ds_read_b32 v10, v0 offset:784
	s_waitcnt lgkmcnt(0)
	v_and_b32_e32 v10, 15, v10
	v_cmp_eq_u32_e32 vcc, 0, v10
	s_and_b64 vcc, s[30:31], vcc
	s_andn2_b64 s[30:31], s[30:31], exec
	s_and_b64 vcc, vcc, exec
	s_or_b64 s[30:31], s[30:31], vcc
.LBB4_301:                              ;   in Loop: Header=BB4_79 Depth=1
	s_or_b64 exec, exec, s[34:35]
	s_xor_b64 vcc, s[30:31], -1
	v_cndmask_b32_e64 v10, 0, 1, vcc
	;;#ASMSTART
	;;#ASMEND
	s_mov_b64 s[34:35], -1
	v_cmp_ne_u32_e32 vcc, 0, v10
	v_mov_b32_e32 v16, 0
	v_mov_b32_e32 v17, v2
	;; [unrolled: 1-line block ×4, first 2 shown]
	s_cbranch_vccnz .LBB4_319
; %bb.302:                              ;   in Loop: Header=BB4_79 Depth=1
	v_accvgpr_read_b32 v10, a10
	v_sub_u32_e32 v36, v2, v10
	v_ashrrev_i32_e32 v10, 31, v2
	v_lshrrev_b32_e32 v10, 22, v10
	v_add_u32_e32 v10, v2, v10
	v_and_b32_e32 v22, 0xfffffc00, v10
	v_accvgpr_read_b32 v11, a11
	v_sub_u32_e32 v50, v2, v22
	v_ashrrev_i32_e32 v11, 10, v10
	v_cmp_lt_i32_e64 s[30:31], 15, v50
	v_accvgpr_read_b32 v10, a18
	s_nop 0
	v_addc_co_u32_e64 v31, vcc, v11, v10, s[30:31]
	v_cmp_lt_i32_e32 vcc, 15, v36
	s_and_saveexec_b64 s[64:65], vcc
	s_cbranch_execz .LBB4_308
; %bb.303:                              ;   in Loop: Header=BB4_79 Depth=1
	s_trap 2
	ds_read_b64 v[16:17], v0
	ds_read_b128 v[10:13], v0
	v_accvgpr_read_b32 v25, a11
	v_accvgpr_read_b32 v24, a10
	s_mov_b64 s[66:67], 0
	s_waitcnt lgkmcnt(0)
	v_lshl_add_u64 v[60:61], v[16:17], 0, v[24:25]
	v_lshl_add_u64 v[56:57], v[10:11], 0, v[24:25]
	;; [unrolled: 1-line block ×3, first 2 shown]
.LBB4_304:                              ;   Parent Loop BB4_79 Depth=1
                                        ; =>  This Loop Header: Depth=2
                                        ;       Child Loop BB4_305 Depth 3
	global_load_dwordx4 v[10:13], v[60:61], off nt
	s_mov_b64 s[70:71], -1
	s_mov_b64 s[68:69], 0
	s_waitcnt vmcnt(0)
.LBB4_305:                              ;   Parent Loop BB4_79 Depth=1
                                        ;     Parent Loop BB4_304 Depth=2
                                        ; =>    This Inner Loop Header: Depth=3
	s_cmp_eq_u32 s68, 0
	s_cselect_b64 s[34:35], -1, 0
	s_cmp_eq_u32 s68, 1
	v_cndmask_b32_e64 v24, 0, 1, s[70:71]
	s_cselect_b64 s[36:37], -1, 0
	v_cmp_ne_u32_e32 vcc, 1, v24
	v_cndmask_b32_e64 v25, v57, v17, s[36:37]
	v_cndmask_b32_e64 v24, v56, v16, s[36:37]
	global_store_dwordx4 v[24:25], v[10:13], off nt
	v_lshl_add_u64 v[24:25], v[24:25], 0, s[48:49]
	s_mov_b64 s[70:71], 0
	s_mov_b64 s[68:69], 1
	s_and_b64 vcc, exec, vcc
	v_cndmask_b32_e64 v17, v17, v25, s[36:37]
	v_cndmask_b32_e64 v16, v16, v24, s[36:37]
	;; [unrolled: 1-line block ×4, first 2 shown]
	s_cbranch_vccz .LBB4_305
; %bb.306:                              ;   in Loop: Header=BB4_304 Depth=2
	v_sub_u32_e32 v36, v36, v37
	v_cmp_gt_i32_e32 vcc, 16, v36
	v_lshl_add_u64 v[56:57], v[56:57], 0, v[52:53]
	v_lshl_add_u64 v[16:17], v[16:17], 0, v[52:53]
	v_lshl_add_u64 v[60:61], v[46:47], 0, v[60:61]
	s_or_b64 s[66:67], vcc, s[66:67]
	v_sub_u32_e32 v31, v31, v34
	s_andn2_b64 exec, exec, s[66:67]
	s_cbranch_execnz .LBB4_304
; %bb.307:                              ;   in Loop: Header=BB4_79 Depth=1
	s_or_b64 exec, exec, s[66:67]
	v_accvgpr_read_b32 v60, a6
	v_mov_b32_e32 v61, 1
	v_accvgpr_read_b32 v57, a16
.LBB4_308:                              ;   in Loop: Header=BB4_79 Depth=1
	s_or_b64 exec, exec, s[64:65]
	v_and_b32_e32 v11, 15, v2
	v_cndmask_b32_e64 v36, v50, v11, s[30:31]
	v_cmp_ne_u32_e32 vcc, 0, v36
	s_mov_b64 s[34:35], 0
	v_mov_b32_e32 v16, 0
                                        ; implicit-def: $vgpr17
                                        ; implicit-def: $vgpr56
                                        ; implicit-def: $vgpr10
	s_and_saveexec_b64 s[64:65], vcc
	s_cbranch_execz .LBB4_318
; %bb.309:                              ;   in Loop: Header=BB4_79 Depth=1
	v_sub_u32_e32 v10, v50, v11
	v_cndmask_b32_e64 v10, 0, v10, s[30:31]
	v_add_u32_e32 v10, v10, v22
	v_cmp_lt_i32_e32 vcc, 0, v31
	v_accvgpr_write_b32 a19, v10
	v_accvgpr_read_b32 v11, a17
	v_cndmask_b32_e32 v10, 0, v34, vcc
	v_sub_u32_e32 v10, v10, v31
	v_lshl_add_u32 v10, v10, 6, v11
	v_ashrrev_i32_e32 v11, 31, v10
	v_lshrrev_b32_e32 v11, 26, v11
	v_add_u32_e32 v11, v10, v11
	v_ashrrev_i32_e32 v12, 6, v11
	v_and_b32_e32 v11, 0xffffffc0, v11
	v_sub_u32_e32 v31, v10, v11
	v_ashrrev_i32_e32 v11, 31, v36
	v_lshrrev_b32_e32 v11, 22, v11
	v_add_u32_e32 v11, v36, v11
	v_and_b32_e32 v22, 0xfffffc00, v11
	v_lshlrev_b32_e32 v10, 4, v31
	v_sub_u32_e32 v50, v36, v22
	v_lshl_add_u32 v10, v12, 10, v10
	v_ashrrev_i32_e32 v13, 10, v11
	v_cmp_lt_i32_e64 s[30:31], 15, v50
	v_sub_u32_e32 v51, v36, v10
	s_nop 0
	v_addc_co_u32_e64 v11, vcc, 0, v13, s[30:31]
	v_sub_u32_e32 v59, v11, v12
	v_cmp_lt_i32_e32 vcc, 15, v51
	s_and_saveexec_b64 s[66:67], vcc
	s_cbranch_execz .LBB4_315
; %bb.310:                              ;   in Loop: Header=BB4_79 Depth=1
	s_trap 2
	ds_read_b64 v[12:13], v0
	ds_read_b128 v[24:27], v0
	v_accvgpr_read_b32 v11, a19
	v_add_u32_e32 v10, v10, v11
	v_ashrrev_i32_e32 v11, 31, v10
	s_waitcnt lgkmcnt(0)
	v_lshl_add_u64 v[60:61], v[12:13], 0, v[10:11]
	v_lshl_add_u64 v[56:57], v[24:25], 0, v[10:11]
	;; [unrolled: 1-line block ×3, first 2 shown]
	s_mov_b64 s[68:69], 0
.LBB4_311:                              ;   Parent Loop BB4_79 Depth=1
                                        ; =>  This Loop Header: Depth=2
                                        ;       Child Loop BB4_312 Depth 3
	global_load_dwordx4 v[10:13], v[60:61], off nt
	s_mov_b64 s[72:73], -1
	s_mov_b64 s[70:71], 0
	s_waitcnt vmcnt(0)
.LBB4_312:                              ;   Parent Loop BB4_79 Depth=1
                                        ;     Parent Loop BB4_311 Depth=2
                                        ; =>    This Inner Loop Header: Depth=3
	s_cmp_eq_u32 s70, 0
	s_cselect_b64 s[34:35], -1, 0
	s_cmp_eq_u32 s70, 1
	v_cndmask_b32_e64 v24, 0, 1, s[72:73]
	s_cselect_b64 s[36:37], -1, 0
	v_cmp_ne_u32_e32 vcc, 1, v24
	v_cndmask_b32_e64 v25, v57, v17, s[36:37]
	v_cndmask_b32_e64 v24, v56, v16, s[36:37]
	global_store_dwordx4 v[24:25], v[10:13], off nt
	v_lshl_add_u64 v[24:25], v[24:25], 0, s[48:49]
	s_mov_b64 s[72:73], 0
	s_mov_b64 s[70:71], 1
	s_and_b64 vcc, exec, vcc
	v_cndmask_b32_e64 v17, v17, v25, s[36:37]
	v_cndmask_b32_e64 v16, v16, v24, s[36:37]
	;; [unrolled: 1-line block ×4, first 2 shown]
	s_cbranch_vccz .LBB4_312
; %bb.313:                              ;   in Loop: Header=BB4_311 Depth=2
	v_sub_u32_e32 v51, v51, v37
	v_cmp_gt_i32_e32 vcc, 16, v51
	v_lshl_add_u64 v[56:57], v[56:57], 0, v[52:53]
	v_lshl_add_u64 v[16:17], v[16:17], 0, v[52:53]
	;; [unrolled: 1-line block ×3, first 2 shown]
	s_or_b64 s[68:69], vcc, s[68:69]
	v_sub_u32_e32 v59, v59, v34
	s_andn2_b64 exec, exec, s[68:69]
	s_cbranch_execnz .LBB4_311
; %bb.314:                              ;   in Loop: Header=BB4_79 Depth=1
	s_or_b64 exec, exec, s[68:69]
	v_accvgpr_read_b32 v60, a6
	v_mov_b32_e32 v61, 1
	v_accvgpr_read_b32 v57, a16
.LBB4_315:                              ;   in Loop: Header=BB4_79 Depth=1
	s_or_b64 exec, exec, s[66:67]
	v_and_b32_e32 v11, 15, v36
	v_cndmask_b32_e64 v17, v50, v11, s[30:31]
	v_cmp_ne_u32_e32 vcc, 0, v17
	s_mov_b64 s[34:35], 0
	v_mov_b32_e32 v16, 0
                                        ; implicit-def: $vgpr56
                                        ; implicit-def: $vgpr10
	s_and_saveexec_b64 s[36:37], vcc
	s_cbranch_execz .LBB4_317
; %bb.316:                              ;   in Loop: Header=BB4_79 Depth=1
	v_sub_u32_e32 v10, v50, v11
	v_cndmask_b32_e64 v10, 0, v10, s[30:31]
	v_accvgpr_read_b32 v11, a19
	v_cmp_lt_i32_e32 vcc, 0, v59
	v_add3_u32 v16, v22, v11, v10
	s_mov_b64 s[34:35], exec
	v_cndmask_b32_e32 v10, 0, v34, vcc
	v_sub_u32_e32 v10, v10, v59
	v_lshl_add_u32 v56, v10, 6, v31
	v_ashrrev_i32_e32 v10, 31, v56
	v_lshrrev_b32_e32 v10, 26, v10
	v_add_u32_e32 v10, v56, v10
	v_ashrrev_i32_e32 v10, 6, v10
.LBB4_317:                              ;   in Loop: Header=BB4_79 Depth=1
	s_or_b64 exec, exec, s[36:37]
	s_and_b64 s[34:35], s[34:35], exec
.LBB4_318:                              ;   in Loop: Header=BB4_79 Depth=1
	s_or_b64 exec, exec, s[64:65]
	v_accvgpr_read_b32 v51, a15
	v_accvgpr_read_b32 v50, a14
.LBB4_319:                              ;   in Loop: Header=BB4_79 Depth=1
	s_and_saveexec_b64 s[36:37], s[34:35]
	s_cbranch_execz .LBB4_330
; %bb.320:                              ;   in Loop: Header=BB4_79 Depth=1
	v_ashrrev_i32_e32 v11, 31, v17
	v_lshrrev_b32_e32 v11, 23, v11
	v_add_u32_e32 v11, v17, v11
	v_ashrrev_i32_e32 v57, 9, v11
	v_sub_u32_e32 v36, v57, v10
	v_ashrrev_i32_e32 v11, 31, v56
	v_cmp_lt_i32_e32 vcc, 0, v36
	v_lshrrev_b32_e32 v31, 26, v11
	s_and_saveexec_b64 s[30:31], vcc
	s_cbranch_execz .LBB4_324
; %bb.321:                              ;   in Loop: Header=BB4_79 Depth=1
	s_trap 2
	v_add_u32_e32 v11, v56, v31
	ds_read_b64 v[50:51], v0
	ds_read_b128 v[24:27], v0
	v_and_b32_e32 v11, 0xffffffc0, v11
	v_sub_u32_e32 v11, v56, v11
	v_lshlrev_b32_e32 v10, 9, v10
	v_add3_u32 v54, v16, v11, v10
	v_ashrrev_i32_e32 v55, 31, v54
	s_waitcnt lgkmcnt(0)
	v_lshl_add_u64 v[10:11], v[24:25], 0, v[54:55]
	v_lshl_add_u64 v[24:25], v[50:51], 0, s[50:51]
	;; [unrolled: 1-line block ×4, first 2 shown]
	s_mov_b64 s[34:35], 0
.LBB4_322:                              ;   Parent Loop BB4_79 Depth=1
                                        ; =>  This Inner Loop Header: Depth=2
	v_add_co_u32_e32 v24, vcc, 0xfffffe40, v60
	flat_load_ubyte v22, v[60:61] nt
	s_nop 0
	v_addc_co_u32_e32 v25, vcc, -1, v61, vcc
	v_add_co_u32_e32 v26, vcc, 0xfffffe80, v60
	flat_load_ubyte v50, v[24:25] nt
	s_nop 0
	v_addc_co_u32_e32 v27, vcc, -1, v61, vcc
	;; [unrolled: 4-line block ×7, first 2 shown]
	flat_load_ubyte v24, v[24:25] nt
	v_sub_u32_e32 v36, v36, v34
	v_cmp_gt_i32_e32 vcc, 1, v36
	s_or_b64 s[34:35], vcc, s[34:35]
	v_lshl_add_u64 v[60:61], v[60:61], 0, v[40:41]
	s_waitcnt vmcnt(0) lgkmcnt(0)
	flat_store_byte v[10:11], v22 offset:448 nt
	flat_store_byte v[10:11], v50 nt
	flat_store_byte v[10:11], v51 offset:64 nt
	flat_store_byte v[10:11], v54 offset:128 nt
	;; [unrolled: 1-line block ×6, first 2 shown]
	flat_store_byte v[12:13], v50 nt
	flat_store_byte v[12:13], v51 offset:64 nt
	flat_store_byte v[12:13], v54 offset:128 nt
	;; [unrolled: 1-line block ×7, first 2 shown]
	v_lshl_add_u64 v[10:11], v[10:11], 0, v[40:41]
	v_lshl_add_u64 v[12:13], v[12:13], 0, v[40:41]
	s_andn2_b64 exec, exec, s[34:35]
	s_cbranch_execnz .LBB4_322
; %bb.323:                              ;   in Loop: Header=BB4_79 Depth=1
	s_or_b64 exec, exec, s[34:35]
	v_accvgpr_read_b32 v55, a9
	v_accvgpr_read_b32 v51, a15
	;; [unrolled: 1-line block ×4, first 2 shown]
	v_mov_b32_e32 v61, 1
	v_accvgpr_read_b32 v50, a14
.LBB4_324:                              ;   in Loop: Header=BB4_79 Depth=1
	s_or_b64 exec, exec, s[30:31]
	v_lshlrev_b32_e32 v10, 9, v57
	v_cmp_ne_u32_e32 vcc, v17, v10
	s_and_b64 vcc, exec, vcc
	v_accvgpr_read_b32 v57, a16
	s_mov_b64 exec, vcc
	s_cbranch_execz .LBB4_330
; %bb.325:                              ;   in Loop: Header=BB4_79 Depth=1
	v_add_u32_e32 v11, v56, v31
	v_and_b32_e32 v11, 0xffffffc0, v11
	v_sub_u32_e32 v11, v56, v11
	v_lshlrev_b32_e32 v12, 6, v36
	v_sub_u32_e32 v11, v11, v12
	v_add_u32_e32 v10, v10, v11
	v_sub_u32_e32 v22, v17, v10
	v_cmp_lt_i32_e32 vcc, 0, v22
	s_and_b64 exec, exec, vcc
	s_cbranch_execz .LBB4_330
; %bb.326:                              ;   in Loop: Header=BB4_79 Depth=1
	s_trap 2
	ds_read_b64 v[12:13], v0
	ds_read_b128 v[24:27], v0
	v_add_u32_e32 v16, v10, v16
	v_ashrrev_i32_e32 v17, 31, v16
	s_mov_b64 s[64:65], 0
	s_waitcnt lgkmcnt(0)
	v_lshl_add_u64 v[10:11], v[12:13], 0, v[16:17]
	v_lshl_add_u64 v[12:13], v[24:25], 0, v[16:17]
	;; [unrolled: 1-line block ×3, first 2 shown]
.LBB4_327:                              ;   Parent Loop BB4_79 Depth=1
                                        ; =>  This Loop Header: Depth=2
                                        ;       Child Loop BB4_328 Depth 3
	flat_load_ubyte v31, v[10:11] nt
	s_mov_b64 s[66:67], -1
	s_mov_b64 s[68:69], 0
	s_waitcnt vmcnt(0)
.LBB4_328:                              ;   Parent Loop BB4_79 Depth=1
                                        ;     Parent Loop BB4_327 Depth=2
                                        ; =>    This Inner Loop Header: Depth=3
	s_cmp_eq_u32 s68, 1
	s_cselect_b64 vcc, -1, 0
	v_cndmask_b32_e32 v25, v13, v17, vcc
	s_cmp_eq_u32 s68, 0
	v_cndmask_b32_e32 v24, v12, v16, vcc
	s_waitcnt lgkmcnt(0)
	flat_store_byte v[24:25], v31 nt
	v_lshl_add_u64 v[24:25], v[24:25], 0, 64
	s_cselect_b64 s[30:31], -1, 0
	s_and_b64 s[34:35], exec, s[66:67]
	s_mov_b64 s[68:69], 1
	s_mov_b64 s[66:67], 0
	v_cndmask_b32_e32 v17, v17, v25, vcc
	v_cndmask_b32_e32 v16, v16, v24, vcc
	v_cndmask_b32_e64 v13, v13, v25, s[30:31]
	v_cndmask_b32_e64 v12, v12, v24, s[30:31]
	s_mov_b64 vcc, s[34:35]
	s_cbranch_vccnz .LBB4_328
; %bb.329:                              ;   in Loop: Header=BB4_327 Depth=2
	v_accvgpr_read_b32 v25, a13
	v_sub_u32_e32 v22, v22, v1
	v_accvgpr_read_b32 v24, a12
	v_cmp_gt_i32_e32 vcc, 1, v22
	v_lshl_add_u64 v[12:13], v[12:13], 0, v[24:25]
	v_lshl_add_u64 v[16:17], v[16:17], 0, v[24:25]
	s_or_b64 s[64:65], vcc, s[64:65]
	v_lshl_add_u64 v[10:11], v[42:43], 0, v[10:11]
	s_andn2_b64 exec, exec, s[64:65]
	s_cbranch_execnz .LBB4_327
.LBB4_330:                              ;   in Loop: Header=BB4_79 Depth=1
	s_or_b64 exec, exec, s[36:37]
	s_branch .LBB4_366
.LBB4_331:                              ;   in Loop: Header=BB4_79 Depth=1
	s_and_saveexec_b64 s[34:35], s[10:11]
	s_cbranch_execnz .LBB4_367
.LBB4_332:                              ;   in Loop: Header=BB4_79 Depth=1
	s_or_b64 exec, exec, s[34:35]
                                        ; implicit-def: $vgpr2
	s_and_saveexec_b64 vcc, s[24:25]
	s_xor_b64 s[34:35], exec, vcc
	s_cbranch_execz .LBB4_404
.LBB4_333:                              ;   in Loop: Header=BB4_79 Depth=1
	v_and_b32_e32 v10, 16, v62
	v_cmp_ne_u32_e32 vcc, 0, v10
	v_and_b32_e32 v2, 16, v62
	s_and_b64 s[30:31], vcc, s[30:31]
	s_and_saveexec_b64 vcc, s[30:31]
	s_cbranch_execz .LBB4_335
; %bb.334:                              ;   in Loop: Header=BB4_79 Depth=1
	v_mov_b32_e32 v2, 1
	buffer_wbl2 sc1
	s_waitcnt vmcnt(0) lgkmcnt(0)
	buffer_inv sc1
.LBB4_335:                              ;   in Loop: Header=BB4_79 Depth=1
	s_or_b64 exec, exec, vcc
	s_andn2_saveexec_b64 s[30:31], s[34:35]
	s_cbranch_execnz .LBB4_405
.LBB4_336:                              ;   in Loop: Header=BB4_79 Depth=1
	s_or_b64 exec, exec, s[30:31]
	v_cmp_ne_u32_e32 vcc, 0, v2
	s_and_saveexec_b64 s[30:31], vcc
	s_cbranch_execnz .LBB4_476
	s_branch .LBB4_479
.LBB4_337:                              ;   in Loop: Header=BB4_79 Depth=1
	s_cbranch_execz .LBB4_366
; %bb.338:                              ;   in Loop: Header=BB4_79 Depth=1
	s_mov_b64 s[30:31], -1
	s_and_saveexec_b64 s[34:35], s[22:23]
	s_cbranch_execz .LBB4_340
; %bb.339:                              ;   in Loop: Header=BB4_79 Depth=1
	ds_read_b32 v10, v0 offset:720
	s_waitcnt lgkmcnt(0)
	v_and_b32_e32 v10, 15, v10
	v_cmp_eq_u32_e32 vcc, 0, v10
	s_orn2_b64 s[30:31], vcc, exec
.LBB4_340:                              ;   in Loop: Header=BB4_79 Depth=1
	s_or_b64 exec, exec, s[34:35]
	s_and_saveexec_b64 s[34:35], s[22:23]
	s_cbranch_execz .LBB4_342
; %bb.341:                              ;   in Loop: Header=BB4_79 Depth=1
	ds_read_b32 v10, v0 offset:784
	s_waitcnt lgkmcnt(0)
	v_and_b32_e32 v10, 15, v10
	v_cmp_eq_u32_e32 vcc, 0, v10
	s_and_b64 vcc, s[30:31], vcc
	s_andn2_b64 s[30:31], s[30:31], exec
	s_and_b64 vcc, vcc, exec
	s_or_b64 s[30:31], s[30:31], vcc
.LBB4_342:                              ;   in Loop: Header=BB4_79 Depth=1
	s_or_b64 exec, exec, s[34:35]
	s_xor_b64 vcc, s[30:31], -1
	v_cndmask_b32_e64 v10, 0, 1, vcc
	s_mov_b64 s[36:37], -1
	;;#ASMSTART
	;;#ASMEND
	v_mov_b32_e32 v31, 0
	v_cmp_ne_u32_e32 vcc, 0, v10
	v_mov_b32_e32 v36, v2
	v_mov_b32_e32 v22, v0
	;; [unrolled: 1-line block ×3, first 2 shown]
	s_cbranch_vccnz .LBB4_356
; %bb.343:                              ;   in Loop: Header=BB4_79 Depth=1
	v_ashrrev_i32_e32 v10, 31, v2
	v_lshrrev_b32_e32 v10, 21, v10
	v_add_u32_e32 v10, v2, v10
	v_ashrrev_i32_e32 v16, 11, v10
	v_sub_u32_e32 v17, v16, v57
	v_cmp_lt_i32_e32 vcc, 0, v17
	s_and_saveexec_b64 s[30:31], vcc
	s_cbranch_execz .LBB4_347
; %bb.344:                              ;   in Loop: Header=BB4_79 Depth=1
	s_trap 2
	ds_read_b64 v[10:11], v0
	v_accvgpr_read_b32 v12, a20
	s_mov_b64 s[34:35], 0
	v_accvgpr_read_b32 v13, a21
.LBB4_345:                              ;   Parent Loop BB4_79 Depth=1
                                        ; =>  This Inner Loop Header: Depth=2
	s_waitcnt lgkmcnt(0)
	v_lshl_add_u64 v[50:51], v[10:11], 0, v[12:13]
	global_load_dwordx4 v[24:27], v[50:51], off nt
	global_load_dwordx4 v[54:57], v[50:51], off offset:1024 nt
	v_sub_u32_e32 v17, v17, v34
	v_cmp_gt_i32_e32 vcc, 1, v17
	v_lshl_add_u64 v[12:13], v[12:13], 0, v[44:45]
	s_or_b64 s[34:35], vcc, s[34:35]
	s_waitcnt vmcnt(0)
	global_store_dwordx4 v[50:51], v[24:27], off nt
	global_store_dwordx4 v[50:51], v[54:57], off offset:1024 nt
	s_andn2_b64 exec, exec, s[34:35]
	s_cbranch_execnz .LBB4_345
; %bb.346:                              ;   in Loop: Header=BB4_79 Depth=1
	s_or_b64 exec, exec, s[34:35]
	v_accvgpr_read_b32 v55, a9
	v_accvgpr_read_b32 v54, a8
	;; [unrolled: 1-line block ×3, first 2 shown]
.LBB4_347:                              ;   in Loop: Header=BB4_79 Depth=1
	s_or_b64 exec, exec, s[30:31]
	v_lshlrev_b32_e32 v16, 11, v16
	v_cmp_ne_u32_e32 vcc, v2, v16
	s_mov_b64 s[36:37], 0
	v_mov_b32_e32 v31, 0
                                        ; implicit-def: $vgpr36
                                        ; implicit-def: $vgpr22
                                        ; implicit-def: $vgpr12
	s_and_saveexec_b64 s[34:35], vcc
	s_cbranch_execz .LBB4_355
; %bb.348:                              ;   in Loop: Header=BB4_79 Depth=1
	v_lshlrev_b32_e32 v11, 6, v17
	v_accvgpr_read_b32 v12, a17
	v_sub_u32_e32 v11, v12, v11
	v_ashrrev_i32_e32 v12, 31, v11
	v_lshrrev_b32_e32 v12, 26, v12
	v_add_u32_e32 v12, v11, v12
	v_ashrrev_i32_e32 v13, 6, v12
	v_and_b32_e32 v12, 0xffffffc0, v12
	v_sub_u32_e32 v17, v11, v12
	v_sub_u32_e32 v10, v2, v16
	v_lshlrev_b32_e32 v11, 4, v17
	v_lshl_add_u32 v12, v13, 10, v11
	v_ashrrev_i32_e32 v11, 31, v10
	v_lshrrev_b32_e32 v11, 22, v11
	v_add_u32_e32 v11, v10, v11
	v_and_b32_e32 v50, 0xfffffc00, v11
	v_sub_u32_e32 v56, v10, v50
	v_ashrrev_i32_e32 v24, 10, v11
	v_cmp_lt_i32_e32 vcc, 15, v56
	v_sub_u32_e32 v22, v10, v12
	s_nop 0
	v_addc_co_u32_e64 v10, s[30:31], 0, v24, vcc
	v_sub_u32_e32 v51, v10, v13
	v_cmp_lt_i32_e64 s[30:31], 15, v22
	s_and_saveexec_b64 s[36:37], s[30:31]
	s_cbranch_execz .LBB4_352
; %bb.349:                              ;   in Loop: Header=BB4_79 Depth=1
	s_trap 2
	ds_read_b64 v[10:11], v0
	v_add_u32_e32 v12, v12, v16
	v_ashrrev_i32_e32 v13, 31, v12
	s_mov_b64 s[64:65], 0
.LBB4_350:                              ;   Parent Loop BB4_79 Depth=1
                                        ; =>  This Inner Loop Header: Depth=2
	s_waitcnt lgkmcnt(0)
	v_lshl_add_u64 v[54:55], v[10:11], 0, v[12:13]
	global_load_dwordx4 v[24:27], v[54:55], off nt
	v_sub_u32_e32 v22, v22, v37
	v_cmp_gt_i32_e64 s[30:31], 16, v22
	v_sub_u32_e32 v51, v51, v34
	v_lshl_add_u64 v[12:13], v[12:13], 0, v[46:47]
	s_or_b64 s[64:65], s[30:31], s[64:65]
	s_waitcnt vmcnt(0)
	global_store_dwordx4 v[54:55], v[24:27], off nt
	s_andn2_b64 exec, exec, s[64:65]
	s_cbranch_execnz .LBB4_350
; %bb.351:                              ;   in Loop: Header=BB4_79 Depth=1
	s_or_b64 exec, exec, s[64:65]
	v_accvgpr_read_b32 v55, a9
	v_accvgpr_read_b32 v54, a8
.LBB4_352:                              ;   in Loop: Header=BB4_79 Depth=1
	s_or_b64 exec, exec, s[36:37]
	v_and_b32_e32 v10, 15, v2
	v_cndmask_b32_e32 v36, v56, v10, vcc
	v_cmp_ne_u32_e64 s[30:31], 0, v36
	s_mov_b64 s[36:37], 0
	v_mov_b32_e32 v31, 0
                                        ; implicit-def: $vgpr22
                                        ; implicit-def: $vgpr12
	s_and_saveexec_b64 s[64:65], s[30:31]
	s_cbranch_execz .LBB4_354
; %bb.353:                              ;   in Loop: Header=BB4_79 Depth=1
	v_sub_u32_e32 v10, v56, v10
	v_cndmask_b32_e32 v10, 0, v10, vcc
	v_cmp_lt_i32_e32 vcc, 0, v51
	v_add3_u32 v31, v50, v16, v10
	s_mov_b64 s[36:37], exec
	v_cndmask_b32_e32 v10, 0, v34, vcc
	v_sub_u32_e32 v10, v10, v51
	v_lshl_add_u32 v22, v10, 6, v17
	v_ashrrev_i32_e32 v10, 31, v22
	v_lshrrev_b32_e32 v10, 26, v10
	v_add_u32_e32 v10, v22, v10
	v_ashrrev_i32_e32 v12, 6, v10
.LBB4_354:                              ;   in Loop: Header=BB4_79 Depth=1
	s_or_b64 exec, exec, s[64:65]
	s_and_b64 s[36:37], s[36:37], exec
.LBB4_355:                              ;   in Loop: Header=BB4_79 Depth=1
	s_or_b64 exec, exec, s[34:35]
.LBB4_356:                              ;   in Loop: Header=BB4_79 Depth=1
	s_and_saveexec_b64 s[30:31], s[36:37]
	s_cbranch_execz .LBB4_365
; %bb.357:                              ;   in Loop: Header=BB4_79 Depth=1
	v_ashrrev_i32_e32 v10, 31, v36
	v_lshrrev_b32_e32 v10, 23, v10
	v_add_u32_e32 v10, v36, v10
	v_ashrrev_i32_e32 v56, 9, v10
	v_sub_u32_e32 v50, v56, v12
	v_ashrrev_i32_e32 v10, 31, v22
	v_cmp_lt_i32_e32 vcc, 0, v50
	v_lshrrev_b32_e32 v51, 26, v10
	s_and_saveexec_b64 s[34:35], vcc
	s_cbranch_execz .LBB4_361
; %bb.358:                              ;   in Loop: Header=BB4_79 Depth=1
	s_trap 2
	ds_read_b64 v[10:11], v0
	v_add_u32_e32 v13, v22, v51
	v_and_b32_e32 v13, 0xffffffc0, v13
	v_sub_u32_e32 v13, v22, v13
	v_lshlrev_b32_e32 v12, 9, v12
	v_add3_u32 v12, v31, v13, v12
	v_ashrrev_i32_e32 v13, 31, v12
	s_mov_b64 s[36:37], 0
	s_waitcnt lgkmcnt(0)
	v_mov_b64_e32 v[16:17], v[10:11]
.LBB4_359:                              ;   Parent Loop BB4_79 Depth=1
                                        ; =>  This Inner Loop Header: Depth=2
	v_lshl_add_u64 v[24:25], v[12:13], 0, v[16:17]
	flat_load_ubyte v26, v[24:25] nt
	flat_load_ubyte v27, v[24:25] offset:64 nt
	flat_load_ubyte v54, v[24:25] offset:128 nt
	;; [unrolled: 1-line block ×7, first 2 shown]
	v_sub_u32_e32 v50, v50, v34
	v_cmp_gt_i32_e32 vcc, 1, v50
	v_lshl_add_u64 v[24:25], v[12:13], 0, v[10:11]
	v_lshl_add_u64 v[16:17], v[16:17], 0, v[40:41]
	;; [unrolled: 1-line block ×3, first 2 shown]
	s_or_b64 s[36:37], vcc, s[36:37]
	s_waitcnt vmcnt(0) lgkmcnt(0)
	flat_store_byte v[24:25], v26 nt
	flat_store_byte v[24:25], v27 offset:64 nt
	flat_store_byte v[24:25], v54 offset:128 nt
	;; [unrolled: 1-line block ×7, first 2 shown]
	s_andn2_b64 exec, exec, s[36:37]
	s_cbranch_execnz .LBB4_359
; %bb.360:                              ;   in Loop: Header=BB4_79 Depth=1
	s_or_b64 exec, exec, s[36:37]
	v_accvgpr_read_b32 v55, a9
	v_accvgpr_read_b32 v60, a6
	;; [unrolled: 1-line block ×3, first 2 shown]
	v_mov_b32_e32 v61, 1
	v_accvgpr_read_b32 v57, a16
.LBB4_361:                              ;   in Loop: Header=BB4_79 Depth=1
	s_or_b64 exec, exec, s[34:35]
	v_lshlrev_b32_e32 v10, 9, v56
	v_cmp_ne_u32_e32 vcc, v36, v10
	s_and_b64 exec, exec, vcc
	s_cbranch_execz .LBB4_365
; %bb.362:                              ;   in Loop: Header=BB4_79 Depth=1
	v_add_u32_e32 v11, v22, v51
	v_and_b32_e32 v11, 0xffffffc0, v11
	v_sub_u32_e32 v11, v22, v11
	v_lshlrev_b32_e32 v12, 6, v50
	v_sub_u32_e32 v11, v11, v12
	v_add_u32_e32 v12, v10, v11
	v_sub_u32_e32 v16, v36, v12
	v_cmp_lt_i32_e32 vcc, 0, v16
	s_and_b64 exec, exec, vcc
	s_cbranch_execz .LBB4_365
; %bb.363:                              ;   in Loop: Header=BB4_79 Depth=1
	s_trap 2
	ds_read_b64 v[10:11], v0
	v_add_u32_e32 v12, v12, v31
	v_ashrrev_i32_e32 v13, 31, v12
	s_mov_b64 s[34:35], 0
.LBB4_364:                              ;   Parent Loop BB4_79 Depth=1
                                        ; =>  This Inner Loop Header: Depth=2
	s_waitcnt lgkmcnt(0)
	v_lshl_add_u64 v[24:25], v[10:11], 0, v[12:13]
	flat_load_ubyte v17, v[24:25] nt
	v_sub_u32_e32 v16, v16, v1
	v_cmp_gt_i32_e32 vcc, 1, v16
	v_lshl_add_u64 v[12:13], v[12:13], 0, v[42:43]
	s_or_b64 s[34:35], vcc, s[34:35]
	s_waitcnt vmcnt(0) lgkmcnt(0)
	flat_store_byte v[24:25], v17 nt
	s_andn2_b64 exec, exec, s[34:35]
	s_cbranch_execnz .LBB4_364
.LBB4_365:                              ;   in Loop: Header=BB4_79 Depth=1
	s_or_b64 exec, exec, s[30:31]
	v_accvgpr_read_b32 v51, a15
	v_accvgpr_read_b32 v50, a14
.LBB4_366:                              ;   in Loop: Header=BB4_79 Depth=1
	v_cmp_lt_i32_e64 s[30:31], 0, v2
	s_and_saveexec_b64 s[34:35], s[10:11]
	s_cbranch_execz .LBB4_332
.LBB4_367:                              ;   in Loop: Header=BB4_79 Depth=1
	s_and_saveexec_b64 vcc, s[46:47]
	s_xor_b64 s[36:37], exec, vcc
	s_cbranch_execz .LBB4_401
; %bb.368:                              ;   in Loop: Header=BB4_79 Depth=1
	s_and_saveexec_b64 s[64:65], s[16:17]
	s_cbranch_execz .LBB4_400
; %bb.369:                              ;   in Loop: Header=BB4_79 Depth=1
	s_mov_b64 s[68:69], exec
	v_mbcnt_lo_u32_b32 v2, s68, 0
	v_mbcnt_hi_u32_b32 v2, s69, v2
	v_cmp_eq_u32_e32 vcc, 0, v2
	s_waitcnt lgkmcnt(0)
	s_and_saveexec_b64 s[66:67], vcc
	s_cbranch_execz .LBB4_371
; %bb.370:                              ;   in Loop: Header=BB4_79 Depth=1
	s_bcnt1_i32_b64 vcc_lo, s[68:69]
	v_mov_b32_e32 v2, vcc_lo
	ds_add_u64 v0, v[2:3]
	s_trap 2
.LBB4_371:                              ;   in Loop: Header=BB4_79 Depth=1
	s_or_b64 exec, exec, s[66:67]
	s_trap 2
	ds_read_b64 v[10:11], v0
	v_lshl_add_u64 v[28:29], v[28:29], 0, v[34:35]
	s_waitcnt lgkmcnt(0)
	v_cmp_lt_u64_e32 vcc, v[10:11], v[28:29]
	s_and_saveexec_b64 s[66:67], vcc
	s_cbranch_execz .LBB4_399
; %bb.372:                              ;   in Loop: Header=BB4_79 Depth=1
	s_mov_b32 s78, 0
	s_mov_b64 s[68:69], 0
                                        ; implicit-def: $sgpr70_sgpr71
                                        ; implicit-def: $sgpr72_sgpr73
	s_branch .LBB4_374
.LBB4_373:                              ;   in Loop: Header=BB4_374 Depth=2
	s_or_b64 exec, exec, s[76:77]
	s_and_b64 vcc, exec, vcc
	s_or_b64 s[68:69], vcc, s[68:69]
	s_andn2_b64 vcc, s[70:71], exec
	s_and_b64 s[70:71], s[72:73], exec
	s_or_b64 s[70:71], vcc, s[70:71]
	s_andn2_b64 exec, exec, s[68:69]
	s_cbranch_execz .LBB4_397
.LBB4_374:                              ;   Parent Loop BB4_79 Depth=1
                                        ; =>  This Inner Loop Header: Depth=2
	s_add_i32 s78, s78, 1
	s_cmpk_lg_i32 s78, 0x2710
	s_cselect_b64 s[74:75], -1, 0
	s_and_b64 vcc, exec, s[74:75]
                                        ; implicit-def: $sgpr76_sgpr77
	s_cbranch_vccnz .LBB4_376
; %bb.375:                              ;   in Loop: Header=BB4_374 Depth=2
	s_trap 2
	ds_read_b64 v[10:11], v0
	s_andn2_b64 s[74:75], s[74:75], exec
	s_mov_b32 s78, 0
	s_mov_b64 s[76:77], -1
	s_waitcnt vmcnt(0) lgkmcnt(0)
	flat_load_dword v2, v[10:11] sc0 sc1
	s_waitcnt vmcnt(0) lgkmcnt(0)
	buffer_inv sc0 sc1
	v_cmp_eq_u32_e32 vcc, 0, v2
	s_and_b64 vcc, vcc, exec
	s_or_b64 s[74:75], s[74:75], vcc
.LBB4_376:                              ;   in Loop: Header=BB4_374 Depth=2
	s_andn2_b64 s[72:73], s[72:73], exec
	s_and_b64 s[76:77], s[76:77], exec
	s_mov_b64 vcc, -1
	s_or_b64 s[72:73], s[72:73], s[76:77]
	s_and_saveexec_b64 s[76:77], s[74:75]
	s_cbranch_execz .LBB4_373
; %bb.377:                              ;   in Loop: Header=BB4_374 Depth=2
	s_sleep 1
	s_trap 2
	ds_read_b64 v[10:11], v0
	s_andn2_b64 s[72:73], s[72:73], exec
	s_waitcnt lgkmcnt(0)
	v_cmp_ge_u64_e32 vcc, v[10:11], v[28:29]
	s_orn2_b64 vcc, vcc, exec
	s_branch .LBB4_373
.LBB4_378:                              ;   in Loop: Header=BB4_79 Depth=1
	s_or_b64 exec, exec, s[66:67]
	s_and_saveexec_b64 vcc, s[68:69]
	s_xor_b64 vcc, exec, vcc
	s_cbranch_execz .LBB4_380
; %bb.379:                              ;   in Loop: Header=BB4_79 Depth=1
	ds_write_b32 v0, v61
	s_trap 2
.LBB4_380:                              ;   in Loop: Header=BB4_79 Depth=1
	s_or_b64 exec, exec, s[64:65]
	;;#ASMSTART
	s_wakeup
	;;#ASMEND
.LBB4_381:                              ;   in Loop: Header=BB4_79 Depth=1
	s_or_b64 exec, exec, s[62:63]
.LBB4_382:                              ;   in Loop: Header=BB4_79 Depth=1
	s_andn2_saveexec_b64 vcc, s[36:37]
	s_cbranch_execz .LBB4_384
; %bb.383:                              ;   in Loop: Header=BB4_79 Depth=1
	s_waitcnt lgkmcnt(0)
	s_barrier
.LBB4_384:                              ;   in Loop: Header=BB4_79 Depth=1
	s_or_b64 exec, exec, vcc
	s_or_b64 exec, exec, s[34:35]
                                        ; implicit-def: $vgpr2
	s_and_saveexec_b64 vcc, s[24:25]
	s_xor_b64 s[34:35], exec, vcc
	s_cbranch_execnz .LBB4_244
.LBB4_385:                              ;   in Loop: Header=BB4_79 Depth=1
	s_andn2_saveexec_b64 s[30:31], s[34:35]
	s_cbranch_execz .LBB4_423
.LBB4_386:                              ;   in Loop: Header=BB4_79 Depth=1
	s_and_saveexec_b64 vcc, s[46:47]
	s_xor_b64 s[34:35], exec, vcc
	s_cbranch_execz .LBB4_420
; %bb.387:                              ;   in Loop: Header=BB4_79 Depth=1
	s_and_saveexec_b64 s[36:37], s[16:17]
	s_cbranch_execz .LBB4_419
; %bb.388:                              ;   in Loop: Header=BB4_79 Depth=1
	s_mov_b64 s[64:65], exec
	v_mbcnt_lo_u32_b32 v2, s64, 0
	v_mbcnt_hi_u32_b32 v2, s65, v2
	v_cmp_eq_u32_e32 vcc, 0, v2
	;;#ASMSTART
	s_waitcnt lgkmcnt(0) vmcnt(0)
	;;#ASMEND
	s_and_saveexec_b64 s[62:63], vcc
	s_cbranch_execz .LBB4_390
; %bb.389:                              ;   in Loop: Header=BB4_79 Depth=1
	s_bcnt1_i32_b64 vcc_lo, s[64:65]
	v_mov_b32_e32 v2, vcc_lo
	ds_add_u64 v0, v[2:3]
	s_trap 2
.LBB4_390:                              ;   in Loop: Header=BB4_79 Depth=1
	s_or_b64 exec, exec, s[62:63]
	s_trap 2
	ds_read_b64 v[10:11], v0
	v_lshl_add_u64 v[28:29], v[28:29], 0, v[34:35]
	s_waitcnt lgkmcnt(0)
	v_cmp_lt_u64_e32 vcc, v[10:11], v[28:29]
	s_and_saveexec_b64 s[62:63], vcc
	s_cbranch_execz .LBB4_418
; %bb.391:                              ;   in Loop: Header=BB4_79 Depth=1
	s_mov_b32 s74, 0
	s_mov_b64 s[64:65], 0
                                        ; implicit-def: $sgpr66_sgpr67
                                        ; implicit-def: $sgpr68_sgpr69
	s_branch .LBB4_393
.LBB4_392:                              ;   in Loop: Header=BB4_393 Depth=2
	s_or_b64 exec, exec, s[72:73]
	s_and_b64 vcc, exec, vcc
	s_or_b64 s[64:65], vcc, s[64:65]
	s_andn2_b64 vcc, s[66:67], exec
	s_and_b64 s[66:67], s[68:69], exec
	s_or_b64 s[66:67], vcc, s[66:67]
	s_andn2_b64 exec, exec, s[64:65]
	s_cbranch_execz .LBB4_416
.LBB4_393:                              ;   Parent Loop BB4_79 Depth=1
                                        ; =>  This Inner Loop Header: Depth=2
	s_add_i32 s74, s74, 1
	s_cmpk_lg_i32 s74, 0x2710
	s_cselect_b64 s[70:71], -1, 0
	s_and_b64 vcc, exec, s[70:71]
                                        ; implicit-def: $sgpr72_sgpr73
	s_cbranch_vccnz .LBB4_395
; %bb.394:                              ;   in Loop: Header=BB4_393 Depth=2
	s_trap 2
	ds_read_b64 v[10:11], v0
	s_andn2_b64 s[70:71], s[70:71], exec
	s_mov_b32 s74, 0
	s_mov_b64 s[72:73], -1
	s_waitcnt vmcnt(0) lgkmcnt(0)
	flat_load_dword v2, v[10:11] sc0 sc1
	s_waitcnt vmcnt(0) lgkmcnt(0)
	buffer_inv sc0 sc1
	v_cmp_eq_u32_e32 vcc, 0, v2
	s_and_b64 vcc, vcc, exec
	s_or_b64 s[70:71], s[70:71], vcc
.LBB4_395:                              ;   in Loop: Header=BB4_393 Depth=2
	s_andn2_b64 s[68:69], s[68:69], exec
	s_and_b64 s[72:73], s[72:73], exec
	s_mov_b64 vcc, -1
	s_or_b64 s[68:69], s[68:69], s[72:73]
	s_and_saveexec_b64 s[72:73], s[70:71]
	s_cbranch_execz .LBB4_392
; %bb.396:                              ;   in Loop: Header=BB4_393 Depth=2
	s_sleep 1
	s_trap 2
	ds_read_b64 v[10:11], v0
	s_andn2_b64 s[68:69], s[68:69], exec
	s_waitcnt lgkmcnt(0)
	v_cmp_ge_u64_e32 vcc, v[10:11], v[28:29]
	s_orn2_b64 vcc, vcc, exec
	s_branch .LBB4_392
.LBB4_397:                              ;   in Loop: Header=BB4_79 Depth=1
	s_or_b64 exec, exec, s[68:69]
	s_and_saveexec_b64 vcc, s[70:71]
	s_xor_b64 vcc, exec, vcc
	s_cbranch_execz .LBB4_399
; %bb.398:                              ;   in Loop: Header=BB4_79 Depth=1
	ds_write_b32 v0, v61
	s_trap 2
.LBB4_399:                              ;   in Loop: Header=BB4_79 Depth=1
	s_or_b64 exec, exec, s[66:67]
	;;#ASMSTART
	s_wakeup
	;;#ASMEND
.LBB4_400:                              ;   in Loop: Header=BB4_79 Depth=1
	s_or_b64 exec, exec, s[64:65]
.LBB4_401:                              ;   in Loop: Header=BB4_79 Depth=1
	s_andn2_saveexec_b64 vcc, s[36:37]
	s_cbranch_execz .LBB4_403
; %bb.402:                              ;   in Loop: Header=BB4_79 Depth=1
	s_waitcnt lgkmcnt(0)
	s_barrier
.LBB4_403:                              ;   in Loop: Header=BB4_79 Depth=1
	s_or_b64 exec, exec, vcc
	s_or_b64 exec, exec, s[34:35]
                                        ; implicit-def: $vgpr2
	s_and_saveexec_b64 vcc, s[24:25]
	s_xor_b64 s[34:35], exec, vcc
	s_cbranch_execnz .LBB4_333
.LBB4_404:                              ;   in Loop: Header=BB4_79 Depth=1
	s_andn2_saveexec_b64 s[30:31], s[34:35]
	s_cbranch_execz .LBB4_336
.LBB4_405:                              ;   in Loop: Header=BB4_79 Depth=1
	s_and_saveexec_b64 vcc, s[46:47]
	s_xor_b64 s[34:35], exec, vcc
	s_cbranch_execz .LBB4_473
; %bb.406:                              ;   in Loop: Header=BB4_79 Depth=1
	s_and_saveexec_b64 s[36:37], s[16:17]
	s_cbranch_execz .LBB4_472
; %bb.407:                              ;   in Loop: Header=BB4_79 Depth=1
	s_mov_b64 s[66:67], exec
	v_mbcnt_lo_u32_b32 v2, s66, 0
	v_mbcnt_hi_u32_b32 v2, s67, v2
	v_cmp_eq_u32_e32 vcc, 0, v2
	;;#ASMSTART
	s_waitcnt lgkmcnt(0) vmcnt(0)
	;;#ASMEND
	s_and_saveexec_b64 s[64:65], vcc
	s_cbranch_execz .LBB4_409
; %bb.408:                              ;   in Loop: Header=BB4_79 Depth=1
	s_bcnt1_i32_b64 vcc_lo, s[66:67]
	v_mov_b32_e32 v2, vcc_lo
	ds_add_u64 v0, v[2:3]
	s_trap 2
.LBB4_409:                              ;   in Loop: Header=BB4_79 Depth=1
	s_or_b64 exec, exec, s[64:65]
	s_trap 2
	ds_read_b64 v[10:11], v0
	v_lshl_add_u64 v[28:29], v[28:29], 0, v[34:35]
	s_waitcnt lgkmcnt(0)
	v_cmp_lt_u64_e32 vcc, v[10:11], v[28:29]
	s_and_saveexec_b64 s[64:65], vcc
	s_cbranch_execz .LBB4_471
; %bb.410:                              ;   in Loop: Header=BB4_79 Depth=1
	s_mov_b32 s76, 0
	s_mov_b64 s[66:67], 0
                                        ; implicit-def: $sgpr68_sgpr69
                                        ; implicit-def: $sgpr70_sgpr71
	s_branch .LBB4_412
.LBB4_411:                              ;   in Loop: Header=BB4_412 Depth=2
	s_or_b64 exec, exec, s[74:75]
	s_and_b64 vcc, exec, vcc
	s_or_b64 s[66:67], vcc, s[66:67]
	s_andn2_b64 vcc, s[68:69], exec
	s_and_b64 s[68:69], s[70:71], exec
	s_or_b64 s[68:69], vcc, s[68:69]
	s_andn2_b64 exec, exec, s[66:67]
	s_cbranch_execz .LBB4_469
.LBB4_412:                              ;   Parent Loop BB4_79 Depth=1
                                        ; =>  This Inner Loop Header: Depth=2
	s_add_i32 s76, s76, 1
	s_cmpk_lg_i32 s76, 0x2710
	s_cselect_b64 s[72:73], -1, 0
	s_and_b64 vcc, exec, s[72:73]
                                        ; implicit-def: $sgpr74_sgpr75
	s_cbranch_vccnz .LBB4_414
; %bb.413:                              ;   in Loop: Header=BB4_412 Depth=2
	s_trap 2
	ds_read_b64 v[10:11], v0
	s_andn2_b64 s[72:73], s[72:73], exec
	s_mov_b32 s76, 0
	s_mov_b64 s[74:75], -1
	s_waitcnt vmcnt(0) lgkmcnt(0)
	flat_load_dword v2, v[10:11] sc0 sc1
	s_waitcnt vmcnt(0) lgkmcnt(0)
	buffer_inv sc0 sc1
	v_cmp_eq_u32_e32 vcc, 0, v2
	s_and_b64 vcc, vcc, exec
	s_or_b64 s[72:73], s[72:73], vcc
.LBB4_414:                              ;   in Loop: Header=BB4_412 Depth=2
	s_andn2_b64 s[70:71], s[70:71], exec
	s_and_b64 s[74:75], s[74:75], exec
	s_mov_b64 vcc, -1
	s_or_b64 s[70:71], s[70:71], s[74:75]
	s_and_saveexec_b64 s[74:75], s[72:73]
	s_cbranch_execz .LBB4_411
; %bb.415:                              ;   in Loop: Header=BB4_412 Depth=2
	s_sleep 1
	s_trap 2
	ds_read_b64 v[10:11], v0
	s_andn2_b64 s[70:71], s[70:71], exec
	s_waitcnt lgkmcnt(0)
	v_cmp_ge_u64_e32 vcc, v[10:11], v[28:29]
	s_orn2_b64 vcc, vcc, exec
	s_branch .LBB4_411
.LBB4_416:                              ;   in Loop: Header=BB4_79 Depth=1
	s_or_b64 exec, exec, s[64:65]
	s_and_saveexec_b64 vcc, s[66:67]
	s_xor_b64 vcc, exec, vcc
	s_cbranch_execz .LBB4_418
; %bb.417:                              ;   in Loop: Header=BB4_79 Depth=1
	ds_write_b32 v0, v61
	s_trap 2
.LBB4_418:                              ;   in Loop: Header=BB4_79 Depth=1
	s_or_b64 exec, exec, s[62:63]
	;;#ASMSTART
	s_wakeup
	;;#ASMEND
.LBB4_419:                              ;   in Loop: Header=BB4_79 Depth=1
	s_or_b64 exec, exec, s[36:37]
.LBB4_420:                              ;   in Loop: Header=BB4_79 Depth=1
	s_andn2_saveexec_b64 vcc, s[34:35]
	s_cbranch_execz .LBB4_422
; %bb.421:                              ;   in Loop: Header=BB4_79 Depth=1
	;;#ASMSTART
	s_waitcnt lgkmcnt(0) vmcnt(0)
	;;#ASMEND
	s_barrier
.LBB4_422:                              ;   in Loop: Header=BB4_79 Depth=1
	s_or_b64 exec, exec, vcc
	v_and_b32_e32 v2, 16, v62
.LBB4_423:                              ;   in Loop: Header=BB4_79 Depth=1
	s_or_b64 exec, exec, s[30:31]
	v_cmp_ne_u32_e32 vcc, 0, v2
	s_xor_b64 s[30:31], s[12:13], -1
	s_and_b64 s[30:31], vcc, s[30:31]
	s_and_saveexec_b64 vcc, s[30:31]
	s_cbranch_execz .LBB4_425
; %bb.424:                              ;   in Loop: Header=BB4_79 Depth=1
	flat_store_dword v[54:55], v61 sc0 sc1
.LBB4_425:                              ;   in Loop: Header=BB4_79 Depth=1
	s_or_b64 exec, exec, vcc
	v_and_b32_e32 v2, 48, v62
	v_cmp_ne_u32_e32 vcc, 0, v2
	s_and_saveexec_b64 s[30:31], vcc
	s_cbranch_execz .LBB4_427
; %bb.426:                              ;   in Loop: Header=BB4_79 Depth=1
	v_lshl_add_u64 v[8:9], v[8:9], 0, 1
	flat_store_dwordx2 v[20:21], v[8:9] sc0 sc1
.LBB4_427:                              ;   in Loop: Header=BB4_79 Depth=1
	s_or_b64 exec, exec, s[30:31]
	v_mov_b32_e32 v12, v58
.LBB4_428:                              ;   in Loop: Header=BB4_79 Depth=1
	s_or_b64 exec, exec, s[60:61]
	s_mov_b64 vcc, 0
	s_and_saveexec_b64 s[34:35], s[26:27]
	s_cbranch_execz .LBB4_567
; %bb.429:                              ;   in Loop: Header=BB4_79 Depth=1
	v_and_b32_e32 v2, 12, v62
	v_cmp_ne_u32_e32 vcc, 0, v2
	s_mov_b64 s[36:37], -1
	s_and_saveexec_b64 s[30:31], vcc
	s_cbranch_execz .LBB4_441
; %bb.430:                              ;   in Loop: Header=BB4_79 Depth=1
	v_and_b32_e32 v2, 8, v62
	v_lshl_add_u64 v[16:17], v[32:33], 0, v[2:3]
	v_lshl_add_u64 v[10:11], v[8:9], 0, 1
	v_cmp_lt_u64_e32 vcc, v[16:17], v[10:11]
	v_mov_b32_e32 v13, 1
	s_and_saveexec_b64 s[36:37], vcc
	s_cbranch_execz .LBB4_440
; %bb.431:                              ;   in Loop: Header=BB4_79 Depth=1
	s_mov_b64 s[60:61], 0
	v_mov_b32_e32 v13, 0
                                        ; implicit-def: $sgpr62_sgpr63
	s_branch .LBB4_435
.LBB4_432:                              ;   in Loop: Header=BB4_435 Depth=2
	s_or_b64 exec, exec, s[70:71]
	v_mov_b32_e32 v16, 0
	s_orn2_b64 s[68:69], s[68:69], exec
.LBB4_433:                              ;   in Loop: Header=BB4_435 Depth=2
	s_or_b64 exec, exec, s[66:67]
	s_andn2_b64 vcc, s[62:63], exec
	s_and_b64 s[62:63], s[68:69], exec
	s_or_b64 s[62:63], vcc, s[62:63]
	v_mov_b32_e32 v13, v16
.LBB4_434:                              ;   in Loop: Header=BB4_435 Depth=2
	s_or_b64 exec, exec, s[64:65]
	s_waitcnt vmcnt(0) lgkmcnt(0)
	v_lshl_add_u64 v[16:17], v[32:33], 0, v[2:3]
	v_cmp_ge_u64_e32 vcc, v[16:17], v[10:11]
	s_xor_b64 s[64:65], s[62:63], -1
	s_or_b64 vcc, s[64:65], vcc
	s_and_b64 vcc, exec, vcc
	s_or_b64 s[60:61], vcc, s[60:61]
	s_andn2_b64 exec, exec, s[60:61]
	s_cbranch_execz .LBB4_439
.LBB4_435:                              ;   Parent Loop BB4_79 Depth=1
                                        ; =>  This Inner Loop Header: Depth=2
	s_sleep 1
	flat_load_dwordx2 v[32:33], v[20:21] sc0 sc1
	v_and_b32_e32 v16, 64, v62
	v_cmp_eq_u32_e32 vcc, 0, v16
	s_andn2_b64 s[62:63], s[62:63], exec
	s_and_saveexec_b64 s[64:65], vcc
	s_cbranch_execz .LBB4_434
; %bb.436:                              ;   in Loop: Header=BB4_435 Depth=2
	v_add_u32_e32 v16, 1, v13
	v_cmp_lt_i32_e32 vcc, s81, v13
	s_mov_b64 s[68:69], -1
	s_and_saveexec_b64 s[66:67], vcc
	s_cbranch_execz .LBB4_433
; %bb.437:                              ;   in Loop: Header=BB4_435 Depth=2
	s_trap 2
	ds_read_b64 v[16:17], v0
	s_waitcnt vmcnt(0) lgkmcnt(0)
	flat_load_dword v13, v[16:17] sc0 sc1
	s_waitcnt vmcnt(0) lgkmcnt(0)
	buffer_inv sc0 sc1
	v_cmp_ne_u32_e32 vcc, 0, v13
	s_and_saveexec_b64 s[70:71], vcc
	s_cbranch_execz .LBB4_432
; %bb.438:                              ;   in Loop: Header=BB4_435 Depth=2
	v_or_b32_e32 v62, 64, v62
	s_xor_b64 s[68:69], exec, -1
	ds_write_b32 v0, v13
	s_trap 2
	s_branch .LBB4_432
.LBB4_439:                              ;   in Loop: Header=BB4_79 Depth=1
	s_or_b64 exec, exec, s[60:61]
	v_and_b32_e32 v13, 12, v62
.LBB4_440:                              ;   in Loop: Header=BB4_79 Depth=1
	s_or_b64 exec, exec, s[36:37]
	v_cmp_eq_u32_e32 vcc, 0, v13
	s_orn2_b64 s[36:37], vcc, exec
	;;#ASMSTART
	s_wakeup
	;;#ASMEND
.LBB4_441:                              ;   in Loop: Header=BB4_79 Depth=1
	s_or_b64 exec, exec, s[30:31]
	v_sub_u32_e32 v2, v30, v12
	s_xor_b64 vcc, s[36:37], -1
	v_min_i32_e32 v10, v58, v2
	s_and_saveexec_b64 s[36:37], vcc
	s_cbranch_execz .LBB4_457
; %bb.442:                              ;   in Loop: Header=BB4_79 Depth=1
	v_and_b32_e32 v2, 0x108, v62
	v_cmp_ne_u32_e32 vcc, s82, v2
	v_and_b32_e32 v2, 7, v8
	s_and_saveexec_b64 s[30:31], vcc
	s_xor_b64 vcc, exec, s[30:31]
	s_andn2_saveexec_b64 vcc, vcc
	s_cbranch_execz .LBB4_444
; %bb.443:                              ;   in Loop: Header=BB4_79 Depth=1
	v_mad_u64_u32 v[12:13], s[30:31], v2, 24, v[6:7]
	v_ashrrev_i32_e32 v11, 31, v10
	flat_store_dwordx2 v[12:13], v[10:11] offset:8
.LBB4_444:                              ;   in Loop: Header=BB4_79 Depth=1
	s_or_b64 exec, exec, vcc
	v_and_b32_e32 v11, 0x100, v62
	v_cmp_ne_u32_e32 vcc, 0, v11
	s_mov_b64 s[30:31], -1
                                        ; implicit-def: $vgpr12_vgpr13
	s_and_saveexec_b64 s[60:61], vcc
	s_cbranch_execz .LBB4_448
; %bb.445:                              ;   in Loop: Header=BB4_79 Depth=1
	v_mad_u64_u32 v[16:17], vcc, v2, 24, v[6:7]
	v_mov_b32_e32 v12, v17
	v_mad_u64_u32 v[12:13], vcc, v3, 24, v[12:13]
	v_mov_b32_e32 v17, v12
	flat_load_dword v11, v[16:17]
                                        ; implicit-def: $vgpr12_vgpr13
	s_waitcnt vmcnt(0) lgkmcnt(0)
	v_cmp_ne_u32_e32 vcc, 1, v11
	v_cmp_eq_u32_e64 s[30:31], 1, v11
	s_and_saveexec_b64 s[62:63], s[30:31]
	s_cbranch_execz .LBB4_447
; %bb.446:                              ;   in Loop: Header=BB4_79 Depth=1
	flat_load_dword v12, v[16:17] offset:4 sc0 sc1
	s_waitcnt vmcnt(0) lgkmcnt(0)
	v_ashrrev_i32_e32 v13, 31, v12
.LBB4_447:                              ;   in Loop: Header=BB4_79 Depth=1
	s_or_b64 exec, exec, s[62:63]
	s_orn2_b64 s[30:31], vcc, exec
.LBB4_448:                              ;   in Loop: Header=BB4_79 Depth=1
	s_or_b64 exec, exec, s[60:61]
	s_and_saveexec_b64 vcc, s[30:31]
; %bb.449:                              ;   in Loop: Header=BB4_79 Depth=1
	v_accvgpr_read_b32 v13, a7
	v_mul_lo_u32 v11, v3, v60
	v_mul_lo_u32 v16, v2, v13
	v_mad_u64_u32 v[12:13], s[30:31], v2, v60, 0
	v_add3_u32 v13, v13, v16, v11
; %bb.450:                              ;   in Loop: Header=BB4_79 Depth=1
	s_or_b64 exec, exec, vcc
	v_and_b32_e32 v2, 0x2000, v62
	v_lshl_add_u64 v[12:13], v[18:19], 0, v[12:13]
	v_cmp_ne_u32_e32 vcc, 0, v2
	s_trap 2
	ds_write_b64 v0, v[12:13]
	s_and_saveexec_b64 s[30:31], vcc
	s_cbranch_execz .LBB4_452
; %bb.451:                              ;   in Loop: Header=BB4_79 Depth=1
	ds_read_b64 v[12:13], v0 offset:584
	s_waitcnt lgkmcnt(0)
	v_lshl_add_u64 v[12:13], v[12:13], 0, 1
	ds_write_b64 v0, v[12:13] offset:584
.LBB4_452:                              ;   in Loop: Header=BB4_79 Depth=1
	s_or_b64 exec, exec, s[30:31]
	v_lshl_add_u64 v[8:9], v[8:9], 0, 1
	s_or_b64 exec, exec, s[36:37]
	s_and_saveexec_b64 s[30:31], s[10:11]
	s_cbranch_execnz .LBB4_458
.LBB4_453:                              ;   in Loop: Header=BB4_79 Depth=1
	s_or_b64 exec, exec, s[30:31]
                                        ; implicit-def: $vgpr2
	s_and_saveexec_b64 vcc, s[24:25]
	s_xor_b64 s[30:31], exec, vcc
	s_cbranch_execz .LBB4_526
.LBB4_454:                              ;   in Loop: Header=BB4_79 Depth=1
	s_trap 2
	ds_read_b32 v11, v0
	v_cmp_lt_i32_e32 vcc, 0, v10
	v_and_b32_e32 v10, 16, v62
	v_and_b32_e32 v2, 16, v62
	s_waitcnt lgkmcnt(0)
	v_readfirstlane_b32 s36, v11
	s_cmp_eq_u32 s36, 0
	s_cselect_b64 s[36:37], -1, 0
	s_and_b64 s[36:37], vcc, s[36:37]
	v_cmp_ne_u32_e32 vcc, 0, v10
	s_and_b64 s[36:37], vcc, s[36:37]
	s_and_saveexec_b64 vcc, s[36:37]
	s_cbranch_execz .LBB4_456
; %bb.455:                              ;   in Loop: Header=BB4_79 Depth=1
	v_mov_b32_e32 v2, 1
	buffer_wbl2 sc1
	s_waitcnt vmcnt(0)
	buffer_inv sc1
.LBB4_456:                              ;   in Loop: Header=BB4_79 Depth=1
	s_or_b64 exec, exec, vcc
	s_andn2_saveexec_b64 s[30:31], s[30:31]
	s_cbranch_execz .LBB4_564
	s_branch .LBB4_527
.LBB4_457:                              ;   in Loop: Header=BB4_79 Depth=1
	s_or_b64 exec, exec, s[36:37]
	s_and_saveexec_b64 s[30:31], s[10:11]
	s_cbranch_execz .LBB4_453
.LBB4_458:                              ;   in Loop: Header=BB4_79 Depth=1
	s_and_saveexec_b64 vcc, s[46:47]
	s_xor_b64 s[36:37], exec, vcc
	s_cbranch_execz .LBB4_523
; %bb.459:                              ;   in Loop: Header=BB4_79 Depth=1
	s_and_saveexec_b64 s[60:61], s[16:17]
	s_cbranch_execz .LBB4_522
; %bb.460:                              ;   in Loop: Header=BB4_79 Depth=1
	s_mov_b64 s[64:65], exec
	v_mbcnt_lo_u32_b32 v2, s64, 0
	v_mbcnt_hi_u32_b32 v2, s65, v2
	v_cmp_eq_u32_e32 vcc, 0, v2
	s_waitcnt lgkmcnt(0)
	s_and_saveexec_b64 s[62:63], vcc
	s_cbranch_execz .LBB4_462
; %bb.461:                              ;   in Loop: Header=BB4_79 Depth=1
	s_bcnt1_i32_b64 vcc_lo, s[64:65]
	v_mov_b32_e32 v2, vcc_lo
	ds_add_u64 v0, v[2:3]
	s_trap 2
.LBB4_462:                              ;   in Loop: Header=BB4_79 Depth=1
	s_or_b64 exec, exec, s[62:63]
	s_trap 2
	ds_read_b64 v[12:13], v0
	v_lshl_add_u64 v[28:29], v[28:29], 0, v[34:35]
	s_waitcnt lgkmcnt(0)
	v_cmp_lt_u64_e32 vcc, v[12:13], v[28:29]
	s_and_saveexec_b64 s[62:63], vcc
	s_cbranch_execz .LBB4_521
; %bb.463:                              ;   in Loop: Header=BB4_79 Depth=1
	s_mov_b32 s74, 0
	s_mov_b64 s[64:65], 0
                                        ; implicit-def: $sgpr66_sgpr67
                                        ; implicit-def: $sgpr68_sgpr69
	s_branch .LBB4_465
.LBB4_464:                              ;   in Loop: Header=BB4_465 Depth=2
	s_or_b64 exec, exec, s[72:73]
	s_and_b64 vcc, exec, vcc
	s_or_b64 s[64:65], vcc, s[64:65]
	s_andn2_b64 vcc, s[66:67], exec
	s_and_b64 s[66:67], s[68:69], exec
	s_or_b64 s[66:67], vcc, s[66:67]
	s_andn2_b64 exec, exec, s[64:65]
	s_cbranch_execz .LBB4_519
.LBB4_465:                              ;   Parent Loop BB4_79 Depth=1
                                        ; =>  This Inner Loop Header: Depth=2
	s_add_i32 s74, s74, 1
	s_cmpk_lg_i32 s74, 0x2710
	s_cselect_b64 s[70:71], -1, 0
	s_and_b64 vcc, exec, s[70:71]
                                        ; implicit-def: $sgpr72_sgpr73
	s_cbranch_vccnz .LBB4_467
; %bb.466:                              ;   in Loop: Header=BB4_465 Depth=2
	s_trap 2
	ds_read_b64 v[12:13], v0
	s_andn2_b64 s[70:71], s[70:71], exec
	s_mov_b32 s74, 0
	s_mov_b64 s[72:73], -1
	s_waitcnt vmcnt(0) lgkmcnt(0)
	flat_load_dword v2, v[12:13] sc0 sc1
	s_waitcnt vmcnt(0) lgkmcnt(0)
	buffer_inv sc0 sc1
	v_cmp_eq_u32_e32 vcc, 0, v2
	s_and_b64 vcc, vcc, exec
	s_or_b64 s[70:71], s[70:71], vcc
.LBB4_467:                              ;   in Loop: Header=BB4_465 Depth=2
	s_andn2_b64 s[68:69], s[68:69], exec
	s_and_b64 s[72:73], s[72:73], exec
	s_mov_b64 vcc, -1
	s_or_b64 s[68:69], s[68:69], s[72:73]
	s_and_saveexec_b64 s[72:73], s[70:71]
	s_cbranch_execz .LBB4_464
; %bb.468:                              ;   in Loop: Header=BB4_465 Depth=2
	s_sleep 1
	s_trap 2
	ds_read_b64 v[12:13], v0
	s_andn2_b64 s[68:69], s[68:69], exec
	s_waitcnt lgkmcnt(0)
	v_cmp_ge_u64_e32 vcc, v[12:13], v[28:29]
	s_orn2_b64 vcc, vcc, exec
	s_branch .LBB4_464
.LBB4_469:                              ;   in Loop: Header=BB4_79 Depth=1
	s_or_b64 exec, exec, s[66:67]
	s_and_saveexec_b64 vcc, s[68:69]
	s_xor_b64 vcc, exec, vcc
	s_cbranch_execz .LBB4_471
; %bb.470:                              ;   in Loop: Header=BB4_79 Depth=1
	ds_write_b32 v0, v61
	s_trap 2
.LBB4_471:                              ;   in Loop: Header=BB4_79 Depth=1
	s_or_b64 exec, exec, s[64:65]
	;;#ASMSTART
	s_wakeup
	;;#ASMEND
.LBB4_472:                              ;   in Loop: Header=BB4_79 Depth=1
	s_or_b64 exec, exec, s[36:37]
.LBB4_473:                              ;   in Loop: Header=BB4_79 Depth=1
	s_andn2_saveexec_b64 vcc, s[34:35]
	s_cbranch_execz .LBB4_475
; %bb.474:                              ;   in Loop: Header=BB4_79 Depth=1
	;;#ASMSTART
	s_waitcnt lgkmcnt(0) vmcnt(0)
	;;#ASMEND
	s_barrier
.LBB4_475:                              ;   in Loop: Header=BB4_79 Depth=1
	s_or_b64 exec, exec, vcc
	v_and_b32_e32 v2, 16, v62
	s_or_b64 exec, exec, s[30:31]
	v_cmp_ne_u32_e32 vcc, 0, v2
	s_and_saveexec_b64 s[30:31], vcc
	s_cbranch_execz .LBB4_479
.LBB4_476:                              ;   in Loop: Header=BB4_79 Depth=1
	s_and_saveexec_b64 vcc, s[14:15]
	s_cbranch_execz .LBB4_478
; %bb.477:                              ;   in Loop: Header=BB4_79 Depth=1
	flat_store_dword v[54:55], v61 sc0 sc1
.LBB4_478:                              ;   in Loop: Header=BB4_79 Depth=1
	s_or_b64 exec, exec, vcc
	v_lshl_add_u64 v[8:9], v[8:9], 0, 1
	flat_store_dwordx2 v[20:21], v[8:9] sc0 sc1
.LBB4_479:                              ;   in Loop: Header=BB4_79 Depth=1
	s_or_b64 exec, exec, s[30:31]
	v_mov_b32_e32 v2, v58
.LBB4_480:                              ;   in Loop: Header=BB4_79 Depth=1
	s_or_b64 exec, exec, s[62:63]
	s_mov_b64 vcc, 0
	s_mov_b64 s[36:37], s[56:57]
	s_and_saveexec_b64 s[34:35], s[26:27]
	s_cbranch_execz .LBB4_616
; %bb.481:                              ;   in Loop: Header=BB4_79 Depth=1
	v_and_b32_e32 v10, 8, v62
	v_cmp_ne_u32_e32 vcc, 0, v10
	s_mov_b64 s[36:37], -1
	s_and_saveexec_b64 s[30:31], vcc
	s_cbranch_execz .LBB4_493
; %bb.482:                              ;   in Loop: Header=BB4_79 Depth=1
	v_lshl_add_u64 v[12:13], v[32:33], 0, 8
	v_lshl_add_u64 v[10:11], v[8:9], 0, 1
	v_cmp_lt_u64_e32 vcc, v[12:13], v[10:11]
	v_mov_b32_e32 v12, 1
	s_and_saveexec_b64 s[36:37], vcc
	s_cbranch_execz .LBB4_492
; %bb.483:                              ;   in Loop: Header=BB4_79 Depth=1
	s_mov_b64 s[62:63], 0
	v_mov_b32_e32 v12, 0
                                        ; implicit-def: $sgpr64_sgpr65
	s_branch .LBB4_487
.LBB4_484:                              ;   in Loop: Header=BB4_487 Depth=2
	s_or_b64 exec, exec, s[72:73]
	v_mov_b32_e32 v13, 0
	s_orn2_b64 s[70:71], s[70:71], exec
.LBB4_485:                              ;   in Loop: Header=BB4_487 Depth=2
	s_or_b64 exec, exec, s[68:69]
	s_andn2_b64 vcc, s[64:65], exec
	s_and_b64 s[64:65], s[70:71], exec
	s_or_b64 s[64:65], vcc, s[64:65]
	v_mov_b32_e32 v12, v13
.LBB4_486:                              ;   in Loop: Header=BB4_487 Depth=2
	s_or_b64 exec, exec, s[66:67]
	s_waitcnt vmcnt(0) lgkmcnt(0)
	v_lshl_add_u64 v[16:17], v[32:33], 0, 8
	v_cmp_ge_u64_e32 vcc, v[16:17], v[10:11]
	s_xor_b64 s[66:67], s[64:65], -1
	s_or_b64 vcc, s[66:67], vcc
	s_and_b64 vcc, exec, vcc
	s_or_b64 s[62:63], vcc, s[62:63]
	s_andn2_b64 exec, exec, s[62:63]
	s_cbranch_execz .LBB4_491
.LBB4_487:                              ;   Parent Loop BB4_79 Depth=1
                                        ; =>  This Inner Loop Header: Depth=2
	s_sleep 1
	flat_load_dwordx2 v[32:33], v[20:21] sc0 sc1
	v_and_b32_e32 v13, 64, v62
	v_cmp_eq_u32_e32 vcc, 0, v13
	s_andn2_b64 s[64:65], s[64:65], exec
	s_and_saveexec_b64 s[66:67], vcc
	s_cbranch_execz .LBB4_486
; %bb.488:                              ;   in Loop: Header=BB4_487 Depth=2
	v_add_u32_e32 v13, 1, v12
	v_cmp_lt_i32_e32 vcc, s81, v12
	s_mov_b64 s[70:71], -1
	s_and_saveexec_b64 s[68:69], vcc
	s_cbranch_execz .LBB4_485
; %bb.489:                              ;   in Loop: Header=BB4_487 Depth=2
	s_trap 2
	ds_read_b64 v[12:13], v0
	s_waitcnt vmcnt(0) lgkmcnt(0)
	flat_load_dword v12, v[12:13] sc0 sc1
	s_waitcnt vmcnt(0) lgkmcnt(0)
	buffer_inv sc0 sc1
	v_cmp_ne_u32_e32 vcc, 0, v12
	s_and_saveexec_b64 s[72:73], vcc
	s_cbranch_execz .LBB4_484
; %bb.490:                              ;   in Loop: Header=BB4_487 Depth=2
	v_or_b32_e32 v62, 64, v62
	s_xor_b64 s[70:71], exec, -1
	ds_write_b32 v0, v12
	s_trap 2
	s_branch .LBB4_484
.LBB4_491:                              ;   in Loop: Header=BB4_79 Depth=1
	s_or_b64 exec, exec, s[62:63]
	v_and_b32_e32 v12, 8, v62
.LBB4_492:                              ;   in Loop: Header=BB4_79 Depth=1
	s_or_b64 exec, exec, s[36:37]
	v_cmp_eq_u32_e32 vcc, 0, v12
	s_orn2_b64 s[36:37], vcc, exec
	;;#ASMSTART
	s_wakeup
	;;#ASMEND
.LBB4_493:                              ;   in Loop: Header=BB4_79 Depth=1
	s_or_b64 exec, exec, s[30:31]
	v_sub_u32_e32 v2, v30, v2
	s_xor_b64 vcc, s[36:37], -1
	v_min_i32_e32 v10, v58, v2
	s_and_saveexec_b64 s[36:37], vcc
	s_cbranch_execz .LBB4_507
; %bb.494:                              ;   in Loop: Header=BB4_79 Depth=1
	v_and_b32_e32 v2, 0x100, v62
	v_cmp_ne_u32_e32 vcc, 0, v2
	v_and_b32_e32 v2, 7, v8
	s_mov_b64 s[30:31], -1
                                        ; implicit-def: $vgpr12_vgpr13
	s_and_saveexec_b64 s[62:63], vcc
	s_cbranch_execz .LBB4_498
; %bb.495:                              ;   in Loop: Header=BB4_79 Depth=1
	v_mad_u64_u32 v[16:17], vcc, v2, 24, v[6:7]
	flat_load_dword v12, v[16:17]
	v_ashrrev_i32_e32 v11, 31, v10
	flat_store_dwordx2 v[16:17], v[10:11] offset:8
	s_waitcnt vmcnt(0) lgkmcnt(0)
	v_cmp_ne_u32_e32 vcc, 1, v12
	v_cmp_eq_u32_e64 s[30:31], 1, v12
                                        ; implicit-def: $vgpr12_vgpr13
	s_and_saveexec_b64 s[64:65], s[30:31]
	s_cbranch_execz .LBB4_497
; %bb.496:                              ;   in Loop: Header=BB4_79 Depth=1
	flat_load_dword v12, v[16:17] offset:4 sc0 sc1
	s_waitcnt vmcnt(0) lgkmcnt(0)
	v_ashrrev_i32_e32 v13, 31, v12
.LBB4_497:                              ;   in Loop: Header=BB4_79 Depth=1
	s_or_b64 exec, exec, s[64:65]
	s_orn2_b64 s[30:31], vcc, exec
.LBB4_498:                              ;   in Loop: Header=BB4_79 Depth=1
	s_or_b64 exec, exec, s[62:63]
	s_and_saveexec_b64 vcc, s[30:31]
; %bb.499:                              ;   in Loop: Header=BB4_79 Depth=1
	v_mad_i64_i32 v[12:13], s[30:31], v2, v60, 0
; %bb.500:                              ;   in Loop: Header=BB4_79 Depth=1
	s_or_b64 exec, exec, vcc
	v_and_b32_e32 v2, 0x2000, v62
	v_lshl_add_u64 v[12:13], v[18:19], 0, v[12:13]
	v_cmp_ne_u32_e32 vcc, 0, v2
	ds_write_b64 v0, v[12:13] offset:792
	s_and_saveexec_b64 s[30:31], vcc
	s_cbranch_execz .LBB4_502
; %bb.501:                              ;   in Loop: Header=BB4_79 Depth=1
	ds_read_b64 v[12:13], v0 offset:584
	s_waitcnt lgkmcnt(0)
	v_lshl_add_u64 v[12:13], v[12:13], 0, 1
	ds_write_b64 v0, v[12:13] offset:584
.LBB4_502:                              ;   in Loop: Header=BB4_79 Depth=1
	s_or_b64 exec, exec, s[30:31]
	v_lshl_add_u64 v[8:9], v[8:9], 0, 1
	s_or_b64 exec, exec, s[36:37]
	s_and_saveexec_b64 s[30:31], s[10:11]
	s_cbranch_execnz .LBB4_508
.LBB4_503:                              ;   in Loop: Header=BB4_79 Depth=1
	s_or_b64 exec, exec, s[30:31]
                                        ; implicit-def: $vgpr2
	s_and_saveexec_b64 vcc, s[24:25]
	s_xor_b64 s[30:31], exec, vcc
	s_cbranch_execz .LBB4_545
.LBB4_504:                              ;   in Loop: Header=BB4_79 Depth=1
	s_trap 2
	ds_read_b32 v11, v0
	v_cmp_lt_i32_e32 vcc, 0, v10
	v_and_b32_e32 v10, 16, v62
	v_and_b32_e32 v2, 16, v62
	s_waitcnt lgkmcnt(0)
	v_readfirstlane_b32 s36, v11
	s_cmp_eq_u32 s36, 0
	s_cselect_b64 s[36:37], -1, 0
	s_and_b64 s[36:37], vcc, s[36:37]
	v_cmp_ne_u32_e32 vcc, 0, v10
	s_and_b64 s[36:37], vcc, s[36:37]
	s_and_saveexec_b64 vcc, s[36:37]
	s_cbranch_execz .LBB4_506
; %bb.505:                              ;   in Loop: Header=BB4_79 Depth=1
	v_mov_b32_e32 v2, 1
	buffer_wbl2 sc1
	s_waitcnt vmcnt(0)
	buffer_inv sc1
.LBB4_506:                              ;   in Loop: Header=BB4_79 Depth=1
	s_or_b64 exec, exec, vcc
	s_andn2_saveexec_b64 s[30:31], s[30:31]
	s_cbranch_execz .LBB4_613
	s_branch .LBB4_546
.LBB4_507:                              ;   in Loop: Header=BB4_79 Depth=1
	s_or_b64 exec, exec, s[36:37]
	s_and_saveexec_b64 s[30:31], s[10:11]
	s_cbranch_execz .LBB4_503
.LBB4_508:                              ;   in Loop: Header=BB4_79 Depth=1
	s_and_saveexec_b64 vcc, s[46:47]
	s_xor_b64 s[36:37], exec, vcc
	s_cbranch_execz .LBB4_542
; %bb.509:                              ;   in Loop: Header=BB4_79 Depth=1
	s_and_saveexec_b64 s[62:63], s[16:17]
	s_cbranch_execz .LBB4_541
; %bb.510:                              ;   in Loop: Header=BB4_79 Depth=1
	s_mov_b64 s[66:67], exec
	v_mbcnt_lo_u32_b32 v2, s66, 0
	v_mbcnt_hi_u32_b32 v2, s67, v2
	v_cmp_eq_u32_e32 vcc, 0, v2
	s_waitcnt lgkmcnt(0)
	s_and_saveexec_b64 s[64:65], vcc
	s_cbranch_execz .LBB4_512
; %bb.511:                              ;   in Loop: Header=BB4_79 Depth=1
	s_bcnt1_i32_b64 vcc_lo, s[66:67]
	v_mov_b32_e32 v2, vcc_lo
	ds_add_u64 v0, v[2:3]
	s_trap 2
.LBB4_512:                              ;   in Loop: Header=BB4_79 Depth=1
	s_or_b64 exec, exec, s[64:65]
	s_trap 2
	ds_read_b64 v[12:13], v0
	v_lshl_add_u64 v[28:29], v[28:29], 0, v[34:35]
	s_waitcnt lgkmcnt(0)
	v_cmp_lt_u64_e32 vcc, v[12:13], v[28:29]
	s_and_saveexec_b64 s[64:65], vcc
	s_cbranch_execz .LBB4_540
; %bb.513:                              ;   in Loop: Header=BB4_79 Depth=1
	s_mov_b32 s76, 0
	s_mov_b64 s[66:67], 0
                                        ; implicit-def: $sgpr68_sgpr69
                                        ; implicit-def: $sgpr70_sgpr71
	s_branch .LBB4_515
.LBB4_514:                              ;   in Loop: Header=BB4_515 Depth=2
	s_or_b64 exec, exec, s[74:75]
	s_and_b64 vcc, exec, vcc
	s_or_b64 s[66:67], vcc, s[66:67]
	s_andn2_b64 vcc, s[68:69], exec
	s_and_b64 s[68:69], s[70:71], exec
	s_or_b64 s[68:69], vcc, s[68:69]
	s_andn2_b64 exec, exec, s[66:67]
	s_cbranch_execz .LBB4_538
.LBB4_515:                              ;   Parent Loop BB4_79 Depth=1
                                        ; =>  This Inner Loop Header: Depth=2
	s_add_i32 s76, s76, 1
	s_cmpk_lg_i32 s76, 0x2710
	s_cselect_b64 s[72:73], -1, 0
	s_and_b64 vcc, exec, s[72:73]
                                        ; implicit-def: $sgpr74_sgpr75
	s_cbranch_vccnz .LBB4_517
; %bb.516:                              ;   in Loop: Header=BB4_515 Depth=2
	s_trap 2
	ds_read_b64 v[12:13], v0
	s_andn2_b64 s[72:73], s[72:73], exec
	s_mov_b32 s76, 0
	s_mov_b64 s[74:75], -1
	s_waitcnt vmcnt(0) lgkmcnt(0)
	flat_load_dword v2, v[12:13] sc0 sc1
	s_waitcnt vmcnt(0) lgkmcnt(0)
	buffer_inv sc0 sc1
	v_cmp_eq_u32_e32 vcc, 0, v2
	s_and_b64 vcc, vcc, exec
	s_or_b64 s[72:73], s[72:73], vcc
.LBB4_517:                              ;   in Loop: Header=BB4_515 Depth=2
	s_andn2_b64 s[70:71], s[70:71], exec
	s_and_b64 s[74:75], s[74:75], exec
	s_mov_b64 vcc, -1
	s_or_b64 s[70:71], s[70:71], s[74:75]
	s_and_saveexec_b64 s[74:75], s[72:73]
	s_cbranch_execz .LBB4_514
; %bb.518:                              ;   in Loop: Header=BB4_515 Depth=2
	s_sleep 1
	s_trap 2
	ds_read_b64 v[12:13], v0
	s_andn2_b64 s[70:71], s[70:71], exec
	s_waitcnt lgkmcnt(0)
	v_cmp_ge_u64_e32 vcc, v[12:13], v[28:29]
	s_orn2_b64 vcc, vcc, exec
	s_branch .LBB4_514
.LBB4_519:                              ;   in Loop: Header=BB4_79 Depth=1
	s_or_b64 exec, exec, s[64:65]
	s_and_saveexec_b64 vcc, s[66:67]
	s_xor_b64 vcc, exec, vcc
	s_cbranch_execz .LBB4_521
; %bb.520:                              ;   in Loop: Header=BB4_79 Depth=1
	ds_write_b32 v0, v61
	s_trap 2
.LBB4_521:                              ;   in Loop: Header=BB4_79 Depth=1
	s_or_b64 exec, exec, s[62:63]
	;;#ASMSTART
	s_wakeup
	;;#ASMEND
.LBB4_522:                              ;   in Loop: Header=BB4_79 Depth=1
	s_or_b64 exec, exec, s[60:61]
.LBB4_523:                              ;   in Loop: Header=BB4_79 Depth=1
	s_andn2_saveexec_b64 vcc, s[36:37]
	s_cbranch_execz .LBB4_525
; %bb.524:                              ;   in Loop: Header=BB4_79 Depth=1
	s_waitcnt lgkmcnt(0)
	s_barrier
.LBB4_525:                              ;   in Loop: Header=BB4_79 Depth=1
	s_or_b64 exec, exec, vcc
	s_or_b64 exec, exec, s[30:31]
                                        ; implicit-def: $vgpr2
	s_and_saveexec_b64 vcc, s[24:25]
	s_xor_b64 s[30:31], exec, vcc
	s_cbranch_execnz .LBB4_454
.LBB4_526:                              ;   in Loop: Header=BB4_79 Depth=1
	s_andn2_saveexec_b64 s[30:31], s[30:31]
	s_cbranch_execz .LBB4_564
.LBB4_527:                              ;   in Loop: Header=BB4_79 Depth=1
	s_and_saveexec_b64 vcc, s[46:47]
	s_xor_b64 s[36:37], exec, vcc
	s_cbranch_execz .LBB4_561
; %bb.528:                              ;   in Loop: Header=BB4_79 Depth=1
	s_and_saveexec_b64 s[60:61], s[16:17]
	s_cbranch_execz .LBB4_560
; %bb.529:                              ;   in Loop: Header=BB4_79 Depth=1
	s_mov_b64 s[64:65], exec
	v_mbcnt_lo_u32_b32 v2, s64, 0
	v_mbcnt_hi_u32_b32 v2, s65, v2
	v_cmp_eq_u32_e32 vcc, 0, v2
	;;#ASMSTART
	s_waitcnt lgkmcnt(0) vmcnt(0)
	;;#ASMEND
	s_and_saveexec_b64 s[62:63], vcc
	s_cbranch_execz .LBB4_531
; %bb.530:                              ;   in Loop: Header=BB4_79 Depth=1
	s_bcnt1_i32_b64 vcc_lo, s[64:65]
	v_mov_b32_e32 v2, vcc_lo
	ds_add_u64 v0, v[2:3]
	s_trap 2
.LBB4_531:                              ;   in Loop: Header=BB4_79 Depth=1
	s_or_b64 exec, exec, s[62:63]
	s_trap 2
	ds_read_b64 v[10:11], v0
	v_lshl_add_u64 v[28:29], v[28:29], 0, v[34:35]
	s_waitcnt lgkmcnt(0)
	v_cmp_lt_u64_e32 vcc, v[10:11], v[28:29]
	s_and_saveexec_b64 s[62:63], vcc
	s_cbranch_execz .LBB4_559
; %bb.532:                              ;   in Loop: Header=BB4_79 Depth=1
	s_mov_b32 s74, 0
	s_mov_b64 s[64:65], 0
                                        ; implicit-def: $sgpr66_sgpr67
                                        ; implicit-def: $sgpr68_sgpr69
	s_branch .LBB4_534
.LBB4_533:                              ;   in Loop: Header=BB4_534 Depth=2
	s_or_b64 exec, exec, s[72:73]
	s_and_b64 vcc, exec, vcc
	s_or_b64 s[64:65], vcc, s[64:65]
	s_andn2_b64 vcc, s[66:67], exec
	s_and_b64 s[66:67], s[68:69], exec
	s_or_b64 s[66:67], vcc, s[66:67]
	s_andn2_b64 exec, exec, s[64:65]
	s_cbranch_execz .LBB4_557
.LBB4_534:                              ;   Parent Loop BB4_79 Depth=1
                                        ; =>  This Inner Loop Header: Depth=2
	s_add_i32 s74, s74, 1
	s_cmpk_lg_i32 s74, 0x2710
	s_cselect_b64 s[70:71], -1, 0
	s_and_b64 vcc, exec, s[70:71]
                                        ; implicit-def: $sgpr72_sgpr73
	s_cbranch_vccnz .LBB4_536
; %bb.535:                              ;   in Loop: Header=BB4_534 Depth=2
	s_trap 2
	ds_read_b64 v[10:11], v0
	s_andn2_b64 s[70:71], s[70:71], exec
	s_mov_b32 s74, 0
	s_mov_b64 s[72:73], -1
	s_waitcnt vmcnt(0) lgkmcnt(0)
	flat_load_dword v2, v[10:11] sc0 sc1
	s_waitcnt vmcnt(0) lgkmcnt(0)
	buffer_inv sc0 sc1
	v_cmp_eq_u32_e32 vcc, 0, v2
	s_and_b64 vcc, vcc, exec
	s_or_b64 s[70:71], s[70:71], vcc
.LBB4_536:                              ;   in Loop: Header=BB4_534 Depth=2
	s_andn2_b64 s[68:69], s[68:69], exec
	s_and_b64 s[72:73], s[72:73], exec
	s_mov_b64 vcc, -1
	s_or_b64 s[68:69], s[68:69], s[72:73]
	s_and_saveexec_b64 s[72:73], s[70:71]
	s_cbranch_execz .LBB4_533
; %bb.537:                              ;   in Loop: Header=BB4_534 Depth=2
	s_sleep 1
	s_trap 2
	ds_read_b64 v[10:11], v0
	s_andn2_b64 s[68:69], s[68:69], exec
	s_waitcnt lgkmcnt(0)
	v_cmp_ge_u64_e32 vcc, v[10:11], v[28:29]
	s_orn2_b64 vcc, vcc, exec
	s_branch .LBB4_533
.LBB4_538:                              ;   in Loop: Header=BB4_79 Depth=1
	s_or_b64 exec, exec, s[66:67]
	s_and_saveexec_b64 vcc, s[68:69]
	s_xor_b64 vcc, exec, vcc
	s_cbranch_execz .LBB4_540
; %bb.539:                              ;   in Loop: Header=BB4_79 Depth=1
	ds_write_b32 v0, v61
	s_trap 2
.LBB4_540:                              ;   in Loop: Header=BB4_79 Depth=1
	s_or_b64 exec, exec, s[64:65]
	;;#ASMSTART
	s_wakeup
	;;#ASMEND
.LBB4_541:                              ;   in Loop: Header=BB4_79 Depth=1
	s_or_b64 exec, exec, s[62:63]
.LBB4_542:                              ;   in Loop: Header=BB4_79 Depth=1
	s_andn2_saveexec_b64 vcc, s[36:37]
	s_cbranch_execz .LBB4_544
; %bb.543:                              ;   in Loop: Header=BB4_79 Depth=1
	s_waitcnt lgkmcnt(0)
	s_barrier
.LBB4_544:                              ;   in Loop: Header=BB4_79 Depth=1
	s_or_b64 exec, exec, vcc
	s_or_b64 exec, exec, s[30:31]
                                        ; implicit-def: $vgpr2
	s_and_saveexec_b64 vcc, s[24:25]
	s_xor_b64 s[30:31], exec, vcc
	s_cbranch_execnz .LBB4_504
.LBB4_545:                              ;   in Loop: Header=BB4_79 Depth=1
	s_andn2_saveexec_b64 s[30:31], s[30:31]
	s_cbranch_execz .LBB4_613
.LBB4_546:                              ;   in Loop: Header=BB4_79 Depth=1
	s_and_saveexec_b64 vcc, s[46:47]
	s_xor_b64 s[36:37], exec, vcc
	s_cbranch_execz .LBB4_610
; %bb.547:                              ;   in Loop: Header=BB4_79 Depth=1
	s_and_saveexec_b64 s[62:63], s[16:17]
	s_cbranch_execz .LBB4_609
; %bb.548:                              ;   in Loop: Header=BB4_79 Depth=1
	s_mov_b64 s[66:67], exec
	v_mbcnt_lo_u32_b32 v2, s66, 0
	v_mbcnt_hi_u32_b32 v2, s67, v2
	v_cmp_eq_u32_e32 vcc, 0, v2
	;;#ASMSTART
	s_waitcnt lgkmcnt(0) vmcnt(0)
	;;#ASMEND
	s_and_saveexec_b64 s[64:65], vcc
	s_cbranch_execz .LBB4_550
; %bb.549:                              ;   in Loop: Header=BB4_79 Depth=1
	s_bcnt1_i32_b64 vcc_lo, s[66:67]
	v_mov_b32_e32 v2, vcc_lo
	ds_add_u64 v0, v[2:3]
	s_trap 2
.LBB4_550:                              ;   in Loop: Header=BB4_79 Depth=1
	s_or_b64 exec, exec, s[64:65]
	s_trap 2
	ds_read_b64 v[10:11], v0
	v_lshl_add_u64 v[28:29], v[28:29], 0, v[34:35]
	s_waitcnt lgkmcnt(0)
	v_cmp_lt_u64_e32 vcc, v[10:11], v[28:29]
	s_and_saveexec_b64 s[64:65], vcc
	s_cbranch_execz .LBB4_608
; %bb.551:                              ;   in Loop: Header=BB4_79 Depth=1
	s_mov_b32 s76, 0
	s_mov_b64 s[66:67], 0
                                        ; implicit-def: $sgpr68_sgpr69
                                        ; implicit-def: $sgpr70_sgpr71
	s_branch .LBB4_553
.LBB4_552:                              ;   in Loop: Header=BB4_553 Depth=2
	s_or_b64 exec, exec, s[74:75]
	s_and_b64 vcc, exec, vcc
	s_or_b64 s[66:67], vcc, s[66:67]
	s_andn2_b64 vcc, s[68:69], exec
	s_and_b64 s[68:69], s[70:71], exec
	s_or_b64 s[68:69], vcc, s[68:69]
	s_andn2_b64 exec, exec, s[66:67]
	s_cbranch_execz .LBB4_606
.LBB4_553:                              ;   Parent Loop BB4_79 Depth=1
                                        ; =>  This Inner Loop Header: Depth=2
	s_add_i32 s76, s76, 1
	s_cmpk_lg_i32 s76, 0x2710
	s_cselect_b64 s[72:73], -1, 0
	s_and_b64 vcc, exec, s[72:73]
                                        ; implicit-def: $sgpr74_sgpr75
	s_cbranch_vccnz .LBB4_555
; %bb.554:                              ;   in Loop: Header=BB4_553 Depth=2
	s_trap 2
	ds_read_b64 v[10:11], v0
	s_andn2_b64 s[72:73], s[72:73], exec
	s_mov_b32 s76, 0
	s_mov_b64 s[74:75], -1
	s_waitcnt vmcnt(0) lgkmcnt(0)
	flat_load_dword v2, v[10:11] sc0 sc1
	s_waitcnt vmcnt(0) lgkmcnt(0)
	buffer_inv sc0 sc1
	v_cmp_eq_u32_e32 vcc, 0, v2
	s_and_b64 vcc, vcc, exec
	s_or_b64 s[72:73], s[72:73], vcc
.LBB4_555:                              ;   in Loop: Header=BB4_553 Depth=2
	s_andn2_b64 s[70:71], s[70:71], exec
	s_and_b64 s[74:75], s[74:75], exec
	s_mov_b64 vcc, -1
	s_or_b64 s[70:71], s[70:71], s[74:75]
	s_and_saveexec_b64 s[74:75], s[72:73]
	s_cbranch_execz .LBB4_552
; %bb.556:                              ;   in Loop: Header=BB4_553 Depth=2
	s_sleep 1
	s_trap 2
	ds_read_b64 v[10:11], v0
	s_andn2_b64 s[70:71], s[70:71], exec
	s_waitcnt lgkmcnt(0)
	v_cmp_ge_u64_e32 vcc, v[10:11], v[28:29]
	s_orn2_b64 vcc, vcc, exec
	s_branch .LBB4_552
.LBB4_557:                              ;   in Loop: Header=BB4_79 Depth=1
	s_or_b64 exec, exec, s[64:65]
	s_and_saveexec_b64 vcc, s[66:67]
	s_xor_b64 vcc, exec, vcc
	s_cbranch_execz .LBB4_559
; %bb.558:                              ;   in Loop: Header=BB4_79 Depth=1
	ds_write_b32 v0, v61
	s_trap 2
.LBB4_559:                              ;   in Loop: Header=BB4_79 Depth=1
	s_or_b64 exec, exec, s[62:63]
	;;#ASMSTART
	s_wakeup
	;;#ASMEND
.LBB4_560:                              ;   in Loop: Header=BB4_79 Depth=1
	s_or_b64 exec, exec, s[60:61]
.LBB4_561:                              ;   in Loop: Header=BB4_79 Depth=1
	s_andn2_saveexec_b64 vcc, s[36:37]
	s_cbranch_execz .LBB4_563
; %bb.562:                              ;   in Loop: Header=BB4_79 Depth=1
	;;#ASMSTART
	s_waitcnt lgkmcnt(0) vmcnt(0)
	;;#ASMEND
	s_barrier
.LBB4_563:                              ;   in Loop: Header=BB4_79 Depth=1
	s_or_b64 exec, exec, vcc
	v_and_b32_e32 v2, 16, v62
.LBB4_564:                              ;   in Loop: Header=BB4_79 Depth=1
	s_or_b64 exec, exec, s[30:31]
	v_cmp_ne_u32_e32 vcc, 0, v2
	s_xor_b64 s[30:31], s[12:13], -1
	s_and_b64 s[30:31], vcc, s[30:31]
	s_and_saveexec_b64 vcc, s[30:31]
	s_cbranch_execz .LBB4_566
; %bb.565:                              ;   in Loop: Header=BB4_79 Depth=1
	flat_store_dword v[54:55], v61 sc0 sc1
.LBB4_566:                              ;   in Loop: Header=BB4_79 Depth=1
	s_or_b64 exec, exec, vcc
	v_and_b32_e32 v2, 48, v62
	v_cmp_ne_u32_e32 vcc, 0, v2
	s_and_b64 vcc, vcc, exec
.LBB4_567:                              ;   in Loop: Header=BB4_79 Depth=1
	s_or_b64 exec, exec, s[34:35]
	s_and_b64 s[34:35], vcc, exec
                                        ; implicit-def: $vgpr58
                                        ; implicit-def: $vgpr30
                                        ; implicit-def: $vgpr10_vgpr11
.LBB4_568:                              ;   in Loop: Header=BB4_79 Depth=1
	s_andn2_saveexec_b64 s[36:37], s[56:57]
	s_cbranch_execz .LBB4_996
; %bb.569:                              ;   in Loop: Header=BB4_79 Depth=1
	v_mov_b32_e32 v16, 0
	s_and_saveexec_b64 s[56:57], s[28:29]
	s_cbranch_execz .LBB4_846
; %bb.570:                              ;   in Loop: Header=BB4_79 Depth=1
	s_and_saveexec_b64 s[30:31], s[0:1]
	s_cbranch_execz .LBB4_572
; %bb.571:                              ;   in Loop: Header=BB4_79 Depth=1
	s_trap 2
	ds_read_b128 v[24:27], v0
	s_waitcnt lgkmcnt(0)
	v_lshl_add_u64 v[12:13], v[24:25], 0, v[10:11]
	v_lshl_add_u64 v[10:11], v[26:27], 0, v[10:11]
	v_cmp_ne_u64_e32 vcc, 0, v[26:27]
	ds_write_b64 v0, v[12:13]
	s_nop 0
	v_cndmask_b32_e32 v11, 0, v11, vcc
	v_cndmask_b32_e32 v10, 0, v10, vcc
	ds_write_b64 v0, v[10:11]
.LBB4_572:                              ;   in Loop: Header=BB4_79 Depth=1
	s_or_b64 exec, exec, s[30:31]
	v_and_b32_e32 v2, 4, v62
	v_cmp_ne_u32_e32 vcc, 0, v2
	s_mov_b64 s[60:61], -1
	s_and_saveexec_b64 s[30:31], vcc
	s_cbranch_execz .LBB4_582
; %bb.573:                              ;   in Loop: Header=BB4_79 Depth=1
	v_lshl_add_u64 v[10:11], v[8:9], 0, 1
	v_cmp_lt_u64_e32 vcc, v[32:33], v[10:11]
	v_mov_b32_e32 v2, 1
	s_and_saveexec_b64 s[60:61], vcc
	s_cbranch_execz .LBB4_593
; %bb.574:                              ;   in Loop: Header=BB4_79 Depth=1
	s_mov_b64 s[62:63], 0
	v_mov_b32_e32 v2, 0
                                        ; implicit-def: $sgpr64_sgpr65
	s_branch .LBB4_578
.LBB4_575:                              ;   in Loop: Header=BB4_578 Depth=2
	s_or_b64 exec, exec, s[72:73]
	v_mov_b32_e32 v12, 0
	s_orn2_b64 s[70:71], s[70:71], exec
.LBB4_576:                              ;   in Loop: Header=BB4_578 Depth=2
	s_or_b64 exec, exec, s[68:69]
	s_andn2_b64 vcc, s[64:65], exec
	s_and_b64 s[64:65], s[70:71], exec
	s_or_b64 s[64:65], vcc, s[64:65]
	v_mov_b32_e32 v2, v12
.LBB4_577:                              ;   in Loop: Header=BB4_578 Depth=2
	s_or_b64 exec, exec, s[66:67]
	s_waitcnt vmcnt(0) lgkmcnt(0)
	v_cmp_ge_u64_e32 vcc, v[32:33], v[10:11]
	s_xor_b64 s[66:67], s[64:65], -1
	s_or_b64 vcc, s[66:67], vcc
	s_and_b64 vcc, exec, vcc
	s_or_b64 s[62:63], vcc, s[62:63]
	s_andn2_b64 exec, exec, s[62:63]
	s_cbranch_execz .LBB4_592
.LBB4_578:                              ;   Parent Loop BB4_79 Depth=1
                                        ; =>  This Inner Loop Header: Depth=2
	s_sleep 1
	flat_load_dwordx2 v[32:33], v[20:21] sc0 sc1
	v_and_b32_e32 v12, 64, v62
	v_cmp_eq_u32_e32 vcc, 0, v12
	s_andn2_b64 s[64:65], s[64:65], exec
	s_and_saveexec_b64 s[66:67], vcc
	s_cbranch_execz .LBB4_577
; %bb.579:                              ;   in Loop: Header=BB4_578 Depth=2
	v_add_u32_e32 v12, 1, v2
	v_cmp_lt_i32_e32 vcc, s81, v2
	s_mov_b64 s[70:71], -1
	s_and_saveexec_b64 s[68:69], vcc
	s_cbranch_execz .LBB4_576
; %bb.580:                              ;   in Loop: Header=BB4_578 Depth=2
	s_trap 2
	ds_read_b64 v[12:13], v0
	s_waitcnt vmcnt(0) lgkmcnt(0)
	flat_load_dword v2, v[12:13] sc0 sc1
	s_waitcnt vmcnt(0) lgkmcnt(0)
	buffer_inv sc0 sc1
	v_cmp_ne_u32_e32 vcc, 0, v2
	s_and_saveexec_b64 s[72:73], vcc
	s_cbranch_execz .LBB4_575
; %bb.581:                              ;   in Loop: Header=BB4_578 Depth=2
	v_or_b32_e32 v62, 64, v62
	s_xor_b64 s[70:71], exec, -1
	ds_write_b32 v0, v2
	s_trap 2
	s_branch .LBB4_575
.LBB4_582:                              ;   in Loop: Header=BB4_79 Depth=1
	s_or_b64 exec, exec, s[30:31]
	s_xor_b64 vcc, s[60:61], -1
	s_and_saveexec_b64 s[60:61], vcc
	s_cbranch_execz .LBB4_594
.LBB4_583:                              ;   in Loop: Header=BB4_79 Depth=1
	v_and_b32_e32 v2, 0x100, v62
	v_cmp_ne_u32_e32 vcc, 0, v2
	v_and_b32_e32 v2, 7, v8
	s_mov_b64 s[30:31], -1
                                        ; implicit-def: $vgpr10_vgpr11
	s_and_saveexec_b64 s[62:63], vcc
	s_cbranch_execz .LBB4_587
; %bb.584:                              ;   in Loop: Header=BB4_79 Depth=1
	v_mad_u64_u32 v[12:13], vcc, v2, 24, v[6:7]
	flat_load_dword v10, v[12:13]
	s_waitcnt vmcnt(0) lgkmcnt(0)
	v_cmp_ne_u32_e32 vcc, 1, v10
	v_cmp_eq_u32_e64 s[30:31], 1, v10
                                        ; implicit-def: $vgpr10_vgpr11
	s_and_saveexec_b64 s[64:65], s[30:31]
	s_cbranch_execz .LBB4_586
; %bb.585:                              ;   in Loop: Header=BB4_79 Depth=1
	flat_load_dword v10, v[12:13] offset:4 sc0 sc1
	s_waitcnt vmcnt(0) lgkmcnt(0)
	v_ashrrev_i32_e32 v11, 31, v10
.LBB4_586:                              ;   in Loop: Header=BB4_79 Depth=1
	s_or_b64 exec, exec, s[64:65]
	s_orn2_b64 s[30:31], vcc, exec
.LBB4_587:                              ;   in Loop: Header=BB4_79 Depth=1
	s_or_b64 exec, exec, s[62:63]
	s_and_saveexec_b64 vcc, s[30:31]
; %bb.588:                              ;   in Loop: Header=BB4_79 Depth=1
	v_mad_i64_i32 v[10:11], s[30:31], v2, v60, 0
; %bb.589:                              ;   in Loop: Header=BB4_79 Depth=1
	s_or_b64 exec, exec, vcc
	v_and_b32_e32 v2, 0x2000, v62
	v_lshl_add_u64 v[10:11], v[18:19], 0, v[10:11]
	v_cmp_ne_u32_e32 vcc, 0, v2
	ds_write_b64 v0, v[10:11] offset:720
	s_and_saveexec_b64 s[30:31], vcc
	s_cbranch_execz .LBB4_591
; %bb.590:                              ;   in Loop: Header=BB4_79 Depth=1
	ds_read_b64 v[10:11], v0 offset:584
	s_waitcnt lgkmcnt(0)
	v_lshl_add_u64 v[10:11], v[10:11], 0, 1
	ds_write_b64 v0, v[10:11] offset:584
.LBB4_591:                              ;   in Loop: Header=BB4_79 Depth=1
	s_or_b64 exec, exec, s[30:31]
	v_lshl_add_u64 v[8:9], v[8:9], 0, 1
	s_or_b64 exec, exec, s[60:61]
	s_and_saveexec_b64 s[30:31], s[10:11]
	s_cbranch_execz .LBB4_662
	s_branch .LBB4_595
.LBB4_592:                              ;   in Loop: Header=BB4_79 Depth=1
	s_or_b64 exec, exec, s[62:63]
	v_and_b32_e32 v2, 4, v62
.LBB4_593:                              ;   in Loop: Header=BB4_79 Depth=1
	s_or_b64 exec, exec, s[60:61]
	v_cmp_eq_u32_e32 vcc, 0, v2
	s_orn2_b64 s[60:61], vcc, exec
	;;#ASMSTART
	s_wakeup
	;;#ASMEND
	s_or_b64 exec, exec, s[30:31]
	s_xor_b64 vcc, s[60:61], -1
	s_and_saveexec_b64 s[60:61], vcc
	s_cbranch_execnz .LBB4_583
.LBB4_594:                              ;   in Loop: Header=BB4_79 Depth=1
	s_or_b64 exec, exec, s[60:61]
	s_and_saveexec_b64 s[30:31], s[10:11]
	s_cbranch_execz .LBB4_662
.LBB4_595:                              ;   in Loop: Header=BB4_79 Depth=1
	s_and_saveexec_b64 vcc, s[46:47]
	s_xor_b64 s[60:61], exec, vcc
	s_cbranch_execz .LBB4_659
; %bb.596:                              ;   in Loop: Header=BB4_79 Depth=1
	s_and_saveexec_b64 s[62:63], s[16:17]
	s_cbranch_execz .LBB4_658
; %bb.597:                              ;   in Loop: Header=BB4_79 Depth=1
	s_mov_b64 s[66:67], exec
	v_mbcnt_lo_u32_b32 v2, s66, 0
	v_mbcnt_hi_u32_b32 v2, s67, v2
	v_cmp_eq_u32_e32 vcc, 0, v2
	s_waitcnt lgkmcnt(0)
	s_and_saveexec_b64 s[64:65], vcc
	s_cbranch_execz .LBB4_599
; %bb.598:                              ;   in Loop: Header=BB4_79 Depth=1
	s_bcnt1_i32_b64 vcc_lo, s[66:67]
	v_mov_b32_e32 v2, vcc_lo
	ds_add_u64 v0, v[2:3]
	s_trap 2
.LBB4_599:                              ;   in Loop: Header=BB4_79 Depth=1
	s_or_b64 exec, exec, s[64:65]
	s_trap 2
	ds_read_b64 v[10:11], v0
	v_lshl_add_u64 v[28:29], v[28:29], 0, v[34:35]
	s_waitcnt lgkmcnt(0)
	v_cmp_lt_u64_e32 vcc, v[10:11], v[28:29]
	s_and_saveexec_b64 s[64:65], vcc
	s_cbranch_execz .LBB4_657
; %bb.600:                              ;   in Loop: Header=BB4_79 Depth=1
	s_mov_b32 s76, 0
	s_mov_b64 s[66:67], 0
                                        ; implicit-def: $sgpr68_sgpr69
                                        ; implicit-def: $sgpr70_sgpr71
	s_branch .LBB4_602
.LBB4_601:                              ;   in Loop: Header=BB4_602 Depth=2
	s_or_b64 exec, exec, s[74:75]
	s_and_b64 vcc, exec, vcc
	s_or_b64 s[66:67], vcc, s[66:67]
	s_andn2_b64 vcc, s[68:69], exec
	s_and_b64 s[68:69], s[70:71], exec
	s_or_b64 s[68:69], vcc, s[68:69]
	s_andn2_b64 exec, exec, s[66:67]
	s_cbranch_execz .LBB4_655
.LBB4_602:                              ;   Parent Loop BB4_79 Depth=1
                                        ; =>  This Inner Loop Header: Depth=2
	s_add_i32 s76, s76, 1
	s_cmpk_lg_i32 s76, 0x2710
	s_cselect_b64 s[72:73], -1, 0
	s_and_b64 vcc, exec, s[72:73]
                                        ; implicit-def: $sgpr74_sgpr75
	s_cbranch_vccnz .LBB4_604
; %bb.603:                              ;   in Loop: Header=BB4_602 Depth=2
	s_trap 2
	ds_read_b64 v[10:11], v0
	s_andn2_b64 s[72:73], s[72:73], exec
	s_mov_b32 s76, 0
	s_mov_b64 s[74:75], -1
	s_waitcnt vmcnt(0) lgkmcnt(0)
	flat_load_dword v2, v[10:11] sc0 sc1
	s_waitcnt vmcnt(0) lgkmcnt(0)
	buffer_inv sc0 sc1
	v_cmp_eq_u32_e32 vcc, 0, v2
	s_and_b64 vcc, vcc, exec
	s_or_b64 s[72:73], s[72:73], vcc
.LBB4_604:                              ;   in Loop: Header=BB4_602 Depth=2
	s_andn2_b64 s[70:71], s[70:71], exec
	s_and_b64 s[74:75], s[74:75], exec
	s_mov_b64 vcc, -1
	s_or_b64 s[70:71], s[70:71], s[74:75]
	s_and_saveexec_b64 s[74:75], s[72:73]
	s_cbranch_execz .LBB4_601
; %bb.605:                              ;   in Loop: Header=BB4_602 Depth=2
	s_sleep 1
	s_trap 2
	ds_read_b64 v[10:11], v0
	s_andn2_b64 s[70:71], s[70:71], exec
	s_waitcnt lgkmcnt(0)
	v_cmp_ge_u64_e32 vcc, v[10:11], v[28:29]
	s_orn2_b64 vcc, vcc, exec
	s_branch .LBB4_601
.LBB4_606:                              ;   in Loop: Header=BB4_79 Depth=1
	s_or_b64 exec, exec, s[66:67]
	s_and_saveexec_b64 vcc, s[68:69]
	s_xor_b64 vcc, exec, vcc
	s_cbranch_execz .LBB4_608
; %bb.607:                              ;   in Loop: Header=BB4_79 Depth=1
	ds_write_b32 v0, v61
	s_trap 2
.LBB4_608:                              ;   in Loop: Header=BB4_79 Depth=1
	s_or_b64 exec, exec, s[64:65]
	;;#ASMSTART
	s_wakeup
	;;#ASMEND
.LBB4_609:                              ;   in Loop: Header=BB4_79 Depth=1
	s_or_b64 exec, exec, s[62:63]
.LBB4_610:                              ;   in Loop: Header=BB4_79 Depth=1
	s_andn2_saveexec_b64 vcc, s[36:37]
	s_cbranch_execz .LBB4_612
; %bb.611:                              ;   in Loop: Header=BB4_79 Depth=1
	;;#ASMSTART
	s_waitcnt lgkmcnt(0) vmcnt(0)
	;;#ASMEND
	s_barrier
.LBB4_612:                              ;   in Loop: Header=BB4_79 Depth=1
	s_or_b64 exec, exec, vcc
	v_and_b32_e32 v2, 16, v62
.LBB4_613:                              ;   in Loop: Header=BB4_79 Depth=1
	s_or_b64 exec, exec, s[30:31]
	v_cmp_ne_u32_e32 vcc, 0, v2
	s_mov_b64 s[30:31], 0
	s_mov_b64 s[36:37], s[56:57]
	s_and_saveexec_b64 s[62:63], vcc
	s_xor_b64 vcc, exec, s[62:63]
; %bb.614:                              ;   in Loop: Header=BB4_79 Depth=1
	s_andn2_b64 s[30:31], s[56:57], exec
	s_and_b64 s[36:37], s[12:13], exec
	s_or_b64 s[36:37], s[30:31], s[36:37]
	s_and_b64 s[30:31], s[14:15], exec
; %bb.615:                              ;   in Loop: Header=BB4_79 Depth=1
	s_or_b64 exec, exec, vcc
	s_andn2_b64 vcc, s[56:57], exec
	s_and_b64 s[36:37], s[36:37], exec
	s_or_b64 s[36:37], vcc, s[36:37]
	s_and_b64 vcc, s[30:31], exec
.LBB4_616:                              ;   in Loop: Header=BB4_79 Depth=1
	s_or_b64 exec, exec, s[34:35]
	s_andn2_b64 s[30:31], s[56:57], exec
	s_and_b64 s[34:35], s[36:37], exec
	s_or_b64 s[30:31], s[30:31], s[34:35]
	s_and_b64 s[34:35], vcc, exec
                                        ; implicit-def: $vgpr58
                                        ; implicit-def: $vgpr30
                                        ; implicit-def: $vgpr10_vgpr11
.LBB4_617:                              ;   in Loop: Header=BB4_79 Depth=1
	s_andn2_saveexec_b64 s[36:37], s[60:61]
	s_cbranch_execz .LBB4_984
; %bb.618:                              ;   in Loop: Header=BB4_79 Depth=1
	v_mov_b32_e32 v2, 0
	s_and_saveexec_b64 s[60:61], s[28:29]
	s_cbranch_execz .LBB4_896
; %bb.619:                              ;   in Loop: Header=BB4_79 Depth=1
	s_and_saveexec_b64 s[28:29], s[0:1]
	s_cbranch_execz .LBB4_621
; %bb.620:                              ;   in Loop: Header=BB4_79 Depth=1
	s_trap 2
	ds_read_b64 v[12:13], v0
	v_mov_b32_e32 v2, v3
	s_waitcnt lgkmcnt(0)
	v_lshl_add_u64 v[10:11], v[12:13], 0, v[10:11]
	ds_write_b64 v0, v[10:11]
	ds_write_b64 v0, v[2:3]
.LBB4_621:                              ;   in Loop: Header=BB4_79 Depth=1
	s_or_b64 exec, exec, s[28:29]
	v_and_b32_e32 v2, 8, v62
	v_cmp_ne_u32_e32 vcc, 0, v2
	s_mov_b64 s[62:63], -1
	s_and_saveexec_b64 s[28:29], vcc
	s_cbranch_execz .LBB4_633
; %bb.622:                              ;   in Loop: Header=BB4_79 Depth=1
	v_lshl_add_u64 v[12:13], v[32:33], 0, 8
	v_lshl_add_u64 v[10:11], v[8:9], 0, 1
	v_cmp_lt_u64_e32 vcc, v[12:13], v[10:11]
	v_mov_b32_e32 v2, 1
	s_and_saveexec_b64 s[62:63], vcc
	s_cbranch_execz .LBB4_632
; %bb.623:                              ;   in Loop: Header=BB4_79 Depth=1
	s_mov_b64 s[64:65], 0
	v_mov_b32_e32 v2, 0
                                        ; implicit-def: $sgpr66_sgpr67
	s_branch .LBB4_627
.LBB4_624:                              ;   in Loop: Header=BB4_627 Depth=2
	s_or_b64 exec, exec, s[74:75]
	v_mov_b32_e32 v12, 0
	s_orn2_b64 s[72:73], s[72:73], exec
.LBB4_625:                              ;   in Loop: Header=BB4_627 Depth=2
	s_or_b64 exec, exec, s[70:71]
	s_andn2_b64 vcc, s[66:67], exec
	s_and_b64 s[66:67], s[72:73], exec
	s_or_b64 s[66:67], vcc, s[66:67]
	v_mov_b32_e32 v2, v12
.LBB4_626:                              ;   in Loop: Header=BB4_627 Depth=2
	s_or_b64 exec, exec, s[68:69]
	s_waitcnt vmcnt(0) lgkmcnt(0)
	v_lshl_add_u64 v[12:13], v[32:33], 0, 8
	v_cmp_ge_u64_e32 vcc, v[12:13], v[10:11]
	s_xor_b64 s[68:69], s[66:67], -1
	s_or_b64 vcc, s[68:69], vcc
	s_and_b64 vcc, exec, vcc
	s_or_b64 s[64:65], vcc, s[64:65]
	s_andn2_b64 exec, exec, s[64:65]
	s_cbranch_execz .LBB4_631
.LBB4_627:                              ;   Parent Loop BB4_79 Depth=1
                                        ; =>  This Inner Loop Header: Depth=2
	s_sleep 1
	flat_load_dwordx2 v[32:33], v[20:21] sc0 sc1
	v_and_b32_e32 v12, 64, v62
	v_cmp_eq_u32_e32 vcc, 0, v12
	s_andn2_b64 s[66:67], s[66:67], exec
	s_and_saveexec_b64 s[68:69], vcc
	s_cbranch_execz .LBB4_626
; %bb.628:                              ;   in Loop: Header=BB4_627 Depth=2
	v_add_u32_e32 v12, 1, v2
	v_cmp_lt_i32_e32 vcc, s81, v2
	s_mov_b64 s[72:73], -1
	s_and_saveexec_b64 s[70:71], vcc
	s_cbranch_execz .LBB4_625
; %bb.629:                              ;   in Loop: Header=BB4_627 Depth=2
	s_trap 2
	ds_read_b64 v[12:13], v0
	s_waitcnt vmcnt(0) lgkmcnt(0)
	flat_load_dword v2, v[12:13] sc0 sc1
	s_waitcnt vmcnt(0) lgkmcnt(0)
	buffer_inv sc0 sc1
	v_cmp_ne_u32_e32 vcc, 0, v2
	s_and_saveexec_b64 s[74:75], vcc
	s_cbranch_execz .LBB4_624
; %bb.630:                              ;   in Loop: Header=BB4_627 Depth=2
	v_or_b32_e32 v62, 64, v62
	s_xor_b64 s[72:73], exec, -1
	ds_write_b32 v0, v2
	s_trap 2
	s_branch .LBB4_624
.LBB4_631:                              ;   in Loop: Header=BB4_79 Depth=1
	s_or_b64 exec, exec, s[64:65]
	v_and_b32_e32 v2, 8, v62
.LBB4_632:                              ;   in Loop: Header=BB4_79 Depth=1
	s_or_b64 exec, exec, s[62:63]
	v_cmp_eq_u32_e32 vcc, 0, v2
	s_orn2_b64 s[62:63], vcc, exec
	;;#ASMSTART
	s_wakeup
	;;#ASMEND
.LBB4_633:                              ;   in Loop: Header=BB4_79 Depth=1
	s_or_b64 exec, exec, s[28:29]
	s_xor_b64 s[28:29], s[62:63], -1
	v_min_i32_e32 v58, v58, v30
	s_and_saveexec_b64 s[62:63], s[28:29]
	s_cbranch_execz .LBB4_643
; %bb.634:                              ;   in Loop: Header=BB4_79 Depth=1
	v_and_b32_e32 v2, 0x100, v62
	v_cmp_ne_u32_e32 vcc, 0, v2
	v_and_b32_e32 v2, 7, v8
	s_mov_b64 s[28:29], -1
                                        ; implicit-def: $vgpr10_vgpr11
	s_and_saveexec_b64 s[64:65], vcc
	s_cbranch_execz .LBB4_638
; %bb.635:                              ;   in Loop: Header=BB4_79 Depth=1
	v_mad_u64_u32 v[12:13], s[28:29], v2, 24, v[6:7]
	flat_load_dword v10, v[12:13]
	v_ashrrev_i32_e32 v59, 31, v58
	flat_store_dwordx2 v[12:13], v[58:59] offset:8
	s_waitcnt vmcnt(0) lgkmcnt(0)
	v_cmp_ne_u32_e32 vcc, 1, v10
	v_cmp_eq_u32_e64 s[28:29], 1, v10
                                        ; implicit-def: $vgpr10_vgpr11
	s_and_saveexec_b64 s[66:67], s[28:29]
	s_cbranch_execz .LBB4_637
; %bb.636:                              ;   in Loop: Header=BB4_79 Depth=1
	flat_load_dword v10, v[12:13] offset:4 sc0 sc1
	s_waitcnt vmcnt(0) lgkmcnt(0)
	v_ashrrev_i32_e32 v11, 31, v10
.LBB4_637:                              ;   in Loop: Header=BB4_79 Depth=1
	s_or_b64 exec, exec, s[66:67]
	s_orn2_b64 s[28:29], vcc, exec
.LBB4_638:                              ;   in Loop: Header=BB4_79 Depth=1
	s_or_b64 exec, exec, s[64:65]
	s_and_saveexec_b64 vcc, s[28:29]
; %bb.639:                              ;   in Loop: Header=BB4_79 Depth=1
	v_mad_i64_i32 v[10:11], s[28:29], v2, v60, 0
; %bb.640:                              ;   in Loop: Header=BB4_79 Depth=1
	s_or_b64 exec, exec, vcc
	v_and_b32_e32 v2, 0x2000, v62
	v_lshl_add_u64 v[10:11], v[18:19], 0, v[10:11]
	v_cmp_ne_u32_e32 vcc, 0, v2
	ds_write_b64 v0, v[10:11] offset:784
	s_and_saveexec_b64 s[28:29], vcc
	s_cbranch_execz .LBB4_642
; %bb.641:                              ;   in Loop: Header=BB4_79 Depth=1
	ds_read_b64 v[10:11], v0 offset:584
	s_waitcnt lgkmcnt(0)
	v_lshl_add_u64 v[10:11], v[10:11], 0, 1
	ds_write_b64 v0, v[10:11] offset:584
.LBB4_642:                              ;   in Loop: Header=BB4_79 Depth=1
	s_or_b64 exec, exec, s[28:29]
	v_lshl_add_u64 v[8:9], v[8:9], 0, 1
.LBB4_643:                              ;   in Loop: Header=BB4_79 Depth=1
	s_or_b64 exec, exec, s[62:63]
	s_and_saveexec_b64 s[28:29], s[10:11]
	s_cbranch_execz .LBB4_681
; %bb.644:                              ;   in Loop: Header=BB4_79 Depth=1
	s_and_saveexec_b64 vcc, s[46:47]
	s_xor_b64 s[62:63], exec, vcc
	s_cbranch_execz .LBB4_678
; %bb.645:                              ;   in Loop: Header=BB4_79 Depth=1
	s_and_saveexec_b64 s[64:65], s[16:17]
	s_cbranch_execz .LBB4_677
; %bb.646:                              ;   in Loop: Header=BB4_79 Depth=1
	s_mov_b64 s[68:69], exec
	v_mbcnt_lo_u32_b32 v2, s68, 0
	v_mbcnt_hi_u32_b32 v2, s69, v2
	v_cmp_eq_u32_e32 vcc, 0, v2
	s_waitcnt lgkmcnt(0)
	s_and_saveexec_b64 s[66:67], vcc
	s_cbranch_execz .LBB4_648
; %bb.647:                              ;   in Loop: Header=BB4_79 Depth=1
	s_bcnt1_i32_b64 vcc_lo, s[68:69]
	v_mov_b32_e32 v2, vcc_lo
	ds_add_u64 v0, v[2:3]
	s_trap 2
.LBB4_648:                              ;   in Loop: Header=BB4_79 Depth=1
	s_or_b64 exec, exec, s[66:67]
	s_trap 2
	ds_read_b64 v[10:11], v0
	v_lshl_add_u64 v[28:29], v[28:29], 0, v[34:35]
	s_waitcnt lgkmcnt(0)
	v_cmp_lt_u64_e32 vcc, v[10:11], v[28:29]
	s_and_saveexec_b64 s[66:67], vcc
	s_cbranch_execz .LBB4_676
; %bb.649:                              ;   in Loop: Header=BB4_79 Depth=1
	s_mov_b32 s78, 0
	s_mov_b64 s[68:69], 0
                                        ; implicit-def: $sgpr70_sgpr71
                                        ; implicit-def: $sgpr72_sgpr73
	s_branch .LBB4_651
.LBB4_650:                              ;   in Loop: Header=BB4_651 Depth=2
	s_or_b64 exec, exec, s[76:77]
	s_and_b64 vcc, exec, vcc
	s_or_b64 s[68:69], vcc, s[68:69]
	s_andn2_b64 vcc, s[70:71], exec
	s_and_b64 s[70:71], s[72:73], exec
	s_or_b64 s[70:71], vcc, s[70:71]
	s_andn2_b64 exec, exec, s[68:69]
	s_cbranch_execz .LBB4_674
.LBB4_651:                              ;   Parent Loop BB4_79 Depth=1
                                        ; =>  This Inner Loop Header: Depth=2
	s_add_i32 s78, s78, 1
	s_cmpk_lg_i32 s78, 0x2710
	s_cselect_b64 s[74:75], -1, 0
	s_and_b64 vcc, exec, s[74:75]
                                        ; implicit-def: $sgpr76_sgpr77
	s_cbranch_vccnz .LBB4_653
; %bb.652:                              ;   in Loop: Header=BB4_651 Depth=2
	s_trap 2
	ds_read_b64 v[10:11], v0
	s_andn2_b64 s[74:75], s[74:75], exec
	s_mov_b32 s78, 0
	s_mov_b64 s[76:77], -1
	s_waitcnt vmcnt(0) lgkmcnt(0)
	flat_load_dword v2, v[10:11] sc0 sc1
	s_waitcnt vmcnt(0) lgkmcnt(0)
	buffer_inv sc0 sc1
	v_cmp_eq_u32_e32 vcc, 0, v2
	s_and_b64 vcc, vcc, exec
	s_or_b64 s[74:75], s[74:75], vcc
.LBB4_653:                              ;   in Loop: Header=BB4_651 Depth=2
	s_andn2_b64 s[72:73], s[72:73], exec
	s_and_b64 s[76:77], s[76:77], exec
	s_mov_b64 vcc, -1
	s_or_b64 s[72:73], s[72:73], s[76:77]
	s_and_saveexec_b64 s[76:77], s[74:75]
	s_cbranch_execz .LBB4_650
; %bb.654:                              ;   in Loop: Header=BB4_651 Depth=2
	s_sleep 1
	s_trap 2
	ds_read_b64 v[10:11], v0
	s_andn2_b64 s[72:73], s[72:73], exec
	s_waitcnt lgkmcnt(0)
	v_cmp_ge_u64_e32 vcc, v[10:11], v[28:29]
	s_orn2_b64 vcc, vcc, exec
	s_branch .LBB4_650
.LBB4_655:                              ;   in Loop: Header=BB4_79 Depth=1
	s_or_b64 exec, exec, s[66:67]
	s_and_saveexec_b64 vcc, s[68:69]
	s_xor_b64 vcc, exec, vcc
	s_cbranch_execz .LBB4_657
; %bb.656:                              ;   in Loop: Header=BB4_79 Depth=1
	ds_write_b32 v0, v61
	s_trap 2
.LBB4_657:                              ;   in Loop: Header=BB4_79 Depth=1
	s_or_b64 exec, exec, s[64:65]
	;;#ASMSTART
	s_wakeup
	;;#ASMEND
.LBB4_658:                              ;   in Loop: Header=BB4_79 Depth=1
	s_or_b64 exec, exec, s[62:63]
.LBB4_659:                              ;   in Loop: Header=BB4_79 Depth=1
	s_andn2_saveexec_b64 vcc, s[60:61]
	s_cbranch_execz .LBB4_661
; %bb.660:                              ;   in Loop: Header=BB4_79 Depth=1
	s_waitcnt lgkmcnt(0)
	s_barrier
.LBB4_661:                              ;   in Loop: Header=BB4_79 Depth=1
	s_or_b64 exec, exec, vcc
.LBB4_662:                              ;   in Loop: Header=BB4_79 Depth=1
	s_or_b64 exec, exec, s[30:31]
	s_trap 2
	ds_read_b32 v10, v0
	v_and_b32_e32 v2, 0x4000, v62
	v_cmp_ne_u32_e32 vcc, 0, v2
	s_xor_b64 s[30:31], s[6:7], -1
	s_and_b64 vcc, s[30:31], vcc
	s_and_saveexec_b64 s[30:31], vcc
	s_cbranch_execz .LBB4_700
; %bb.663:                              ;   in Loop: Header=BB4_79 Depth=1
	s_and_saveexec_b64 vcc, s[46:47]
	s_xor_b64 s[60:61], exec, vcc
	s_cbranch_execz .LBB4_697
; %bb.664:                              ;   in Loop: Header=BB4_79 Depth=1
	s_and_saveexec_b64 s[62:63], s[16:17]
	s_cbranch_execz .LBB4_696
; %bb.665:                              ;   in Loop: Header=BB4_79 Depth=1
	s_mov_b64 s[66:67], exec
	v_mbcnt_lo_u32_b32 v2, s66, 0
	v_mbcnt_hi_u32_b32 v2, s67, v2
	v_cmp_eq_u32_e32 vcc, 0, v2
	s_waitcnt lgkmcnt(0)
	s_and_saveexec_b64 s[64:65], vcc
	s_cbranch_execz .LBB4_667
; %bb.666:                              ;   in Loop: Header=BB4_79 Depth=1
	s_bcnt1_i32_b64 vcc_lo, s[66:67]
	v_mov_b32_e32 v2, vcc_lo
	ds_add_u64 v0, v[2:3]
	s_trap 2
.LBB4_667:                              ;   in Loop: Header=BB4_79 Depth=1
	s_or_b64 exec, exec, s[64:65]
	s_trap 2
	ds_read_b64 v[12:13], v0
	v_lshl_add_u64 v[28:29], v[28:29], 0, v[34:35]
	s_waitcnt lgkmcnt(0)
	v_cmp_lt_u64_e32 vcc, v[12:13], v[28:29]
	s_and_saveexec_b64 s[64:65], vcc
	s_cbranch_execz .LBB4_695
; %bb.668:                              ;   in Loop: Header=BB4_79 Depth=1
	s_mov_b32 s76, 0
	s_mov_b64 s[66:67], 0
                                        ; implicit-def: $sgpr68_sgpr69
                                        ; implicit-def: $sgpr70_sgpr71
	s_branch .LBB4_670
.LBB4_669:                              ;   in Loop: Header=BB4_670 Depth=2
	s_or_b64 exec, exec, s[74:75]
	s_and_b64 vcc, exec, vcc
	s_or_b64 s[66:67], vcc, s[66:67]
	s_andn2_b64 vcc, s[68:69], exec
	s_and_b64 s[68:69], s[70:71], exec
	s_or_b64 s[68:69], vcc, s[68:69]
	s_andn2_b64 exec, exec, s[66:67]
	s_cbranch_execz .LBB4_693
.LBB4_670:                              ;   Parent Loop BB4_79 Depth=1
                                        ; =>  This Inner Loop Header: Depth=2
	s_add_i32 s76, s76, 1
	s_cmpk_lg_i32 s76, 0x2710
	s_cselect_b64 s[72:73], -1, 0
	s_and_b64 vcc, exec, s[72:73]
                                        ; implicit-def: $sgpr74_sgpr75
	s_cbranch_vccnz .LBB4_672
; %bb.671:                              ;   in Loop: Header=BB4_670 Depth=2
	s_trap 2
	ds_read_b64 v[12:13], v0
	s_andn2_b64 s[72:73], s[72:73], exec
	s_mov_b32 s76, 0
	s_mov_b64 s[74:75], -1
	s_waitcnt vmcnt(0) lgkmcnt(0)
	flat_load_dword v2, v[12:13] sc0 sc1
	s_waitcnt vmcnt(0) lgkmcnt(0)
	buffer_inv sc0 sc1
	v_cmp_eq_u32_e32 vcc, 0, v2
	s_and_b64 vcc, vcc, exec
	s_or_b64 s[72:73], s[72:73], vcc
.LBB4_672:                              ;   in Loop: Header=BB4_670 Depth=2
	s_andn2_b64 s[70:71], s[70:71], exec
	s_and_b64 s[74:75], s[74:75], exec
	s_mov_b64 vcc, -1
	s_or_b64 s[70:71], s[70:71], s[74:75]
	s_and_saveexec_b64 s[74:75], s[72:73]
	s_cbranch_execz .LBB4_669
; %bb.673:                              ;   in Loop: Header=BB4_670 Depth=2
	s_sleep 1
	s_trap 2
	ds_read_b64 v[12:13], v0
	s_andn2_b64 s[70:71], s[70:71], exec
	s_waitcnt lgkmcnt(0)
	v_cmp_ge_u64_e32 vcc, v[12:13], v[28:29]
	s_orn2_b64 vcc, vcc, exec
	s_branch .LBB4_669
.LBB4_674:                              ;   in Loop: Header=BB4_79 Depth=1
	s_or_b64 exec, exec, s[68:69]
	s_and_saveexec_b64 vcc, s[70:71]
	s_xor_b64 vcc, exec, vcc
	s_cbranch_execz .LBB4_676
; %bb.675:                              ;   in Loop: Header=BB4_79 Depth=1
	ds_write_b32 v0, v61
	s_trap 2
.LBB4_676:                              ;   in Loop: Header=BB4_79 Depth=1
	s_or_b64 exec, exec, s[66:67]
	;;#ASMSTART
	s_wakeup
	;;#ASMEND
.LBB4_677:                              ;   in Loop: Header=BB4_79 Depth=1
	s_or_b64 exec, exec, s[64:65]
.LBB4_678:                              ;   in Loop: Header=BB4_79 Depth=1
	s_andn2_saveexec_b64 vcc, s[62:63]
	s_cbranch_execz .LBB4_680
; %bb.679:                              ;   in Loop: Header=BB4_79 Depth=1
	s_waitcnt lgkmcnt(0)
	s_barrier
.LBB4_680:                              ;   in Loop: Header=BB4_79 Depth=1
	s_or_b64 exec, exec, vcc
.LBB4_681:                              ;   in Loop: Header=BB4_79 Depth=1
	s_or_b64 exec, exec, s[28:29]
	s_trap 2
	ds_read_b32 v10, v0
	v_and_b32_e32 v2, 0x4000, v62
	v_cmp_ne_u32_e32 vcc, 0, v2
	s_xor_b64 s[28:29], s[6:7], -1
	s_and_b64 vcc, s[28:29], vcc
	s_and_saveexec_b64 s[28:29], vcc
	s_cbranch_execz .LBB4_752
; %bb.682:                              ;   in Loop: Header=BB4_79 Depth=1
	s_and_saveexec_b64 vcc, s[46:47]
	s_xor_b64 s[62:63], exec, vcc
	s_cbranch_execz .LBB4_749
; %bb.683:                              ;   in Loop: Header=BB4_79 Depth=1
	s_and_saveexec_b64 s[64:65], s[16:17]
	s_cbranch_execz .LBB4_748
; %bb.684:                              ;   in Loop: Header=BB4_79 Depth=1
	s_mov_b64 s[68:69], exec
	v_mbcnt_lo_u32_b32 v2, s68, 0
	v_mbcnt_hi_u32_b32 v2, s69, v2
	v_cmp_eq_u32_e32 vcc, 0, v2
	s_waitcnt lgkmcnt(0)
	s_and_saveexec_b64 s[66:67], vcc
	s_cbranch_execz .LBB4_686
; %bb.685:                              ;   in Loop: Header=BB4_79 Depth=1
	s_bcnt1_i32_b64 vcc_lo, s[68:69]
	v_mov_b32_e32 v2, vcc_lo
	ds_add_u64 v0, v[2:3]
	s_trap 2
.LBB4_686:                              ;   in Loop: Header=BB4_79 Depth=1
	s_or_b64 exec, exec, s[66:67]
	s_trap 2
	ds_read_b64 v[12:13], v0
	v_lshl_add_u64 v[28:29], v[28:29], 0, v[34:35]
	s_waitcnt lgkmcnt(0)
	v_cmp_lt_u64_e32 vcc, v[12:13], v[28:29]
	s_and_saveexec_b64 s[66:67], vcc
	s_cbranch_execz .LBB4_747
; %bb.687:                              ;   in Loop: Header=BB4_79 Depth=1
	s_mov_b32 s78, 0
	s_mov_b64 s[68:69], 0
                                        ; implicit-def: $sgpr70_sgpr71
                                        ; implicit-def: $sgpr72_sgpr73
	s_branch .LBB4_689
.LBB4_688:                              ;   in Loop: Header=BB4_689 Depth=2
	s_or_b64 exec, exec, s[76:77]
	s_and_b64 vcc, exec, vcc
	s_or_b64 s[68:69], vcc, s[68:69]
	s_andn2_b64 vcc, s[70:71], exec
	s_and_b64 s[70:71], s[72:73], exec
	s_or_b64 s[70:71], vcc, s[70:71]
	s_andn2_b64 exec, exec, s[68:69]
	s_cbranch_execz .LBB4_745
.LBB4_689:                              ;   Parent Loop BB4_79 Depth=1
                                        ; =>  This Inner Loop Header: Depth=2
	s_add_i32 s78, s78, 1
	s_cmpk_lg_i32 s78, 0x2710
	s_cselect_b64 s[74:75], -1, 0
	s_and_b64 vcc, exec, s[74:75]
                                        ; implicit-def: $sgpr76_sgpr77
	s_cbranch_vccnz .LBB4_691
; %bb.690:                              ;   in Loop: Header=BB4_689 Depth=2
	s_trap 2
	ds_read_b64 v[12:13], v0
	s_andn2_b64 s[74:75], s[74:75], exec
	s_mov_b32 s78, 0
	s_mov_b64 s[76:77], -1
	s_waitcnt vmcnt(0) lgkmcnt(0)
	flat_load_dword v2, v[12:13] sc0 sc1
	s_waitcnt vmcnt(0) lgkmcnt(0)
	buffer_inv sc0 sc1
	v_cmp_eq_u32_e32 vcc, 0, v2
	s_and_b64 vcc, vcc, exec
	s_or_b64 s[74:75], s[74:75], vcc
.LBB4_691:                              ;   in Loop: Header=BB4_689 Depth=2
	s_andn2_b64 s[72:73], s[72:73], exec
	s_and_b64 s[76:77], s[76:77], exec
	s_mov_b64 vcc, -1
	s_or_b64 s[72:73], s[72:73], s[76:77]
	s_and_saveexec_b64 s[76:77], s[74:75]
	s_cbranch_execz .LBB4_688
; %bb.692:                              ;   in Loop: Header=BB4_689 Depth=2
	s_sleep 1
	s_trap 2
	ds_read_b64 v[12:13], v0
	s_andn2_b64 s[72:73], s[72:73], exec
	s_waitcnt lgkmcnt(0)
	v_cmp_ge_u64_e32 vcc, v[12:13], v[28:29]
	s_orn2_b64 vcc, vcc, exec
	s_branch .LBB4_688
.LBB4_693:                              ;   in Loop: Header=BB4_79 Depth=1
	s_or_b64 exec, exec, s[66:67]
	s_and_saveexec_b64 vcc, s[68:69]
	s_xor_b64 vcc, exec, vcc
	s_cbranch_execz .LBB4_695
; %bb.694:                              ;   in Loop: Header=BB4_79 Depth=1
	ds_write_b32 v0, v61
	s_trap 2
.LBB4_695:                              ;   in Loop: Header=BB4_79 Depth=1
	s_or_b64 exec, exec, s[64:65]
	;;#ASMSTART
	s_wakeup
	;;#ASMEND
.LBB4_696:                              ;   in Loop: Header=BB4_79 Depth=1
	s_or_b64 exec, exec, s[62:63]
.LBB4_697:                              ;   in Loop: Header=BB4_79 Depth=1
	s_andn2_saveexec_b64 vcc, s[60:61]
	s_cbranch_execz .LBB4_699
; %bb.698:                              ;   in Loop: Header=BB4_79 Depth=1
	s_waitcnt lgkmcnt(0)
	s_barrier
.LBB4_699:                              ;   in Loop: Header=BB4_79 Depth=1
	s_or_b64 exec, exec, vcc
.LBB4_700:                              ;   in Loop: Header=BB4_79 Depth=1
	s_or_b64 exec, exec, s[30:31]
	s_trap 2
	ds_read_b64 v[12:13], v0
	v_min_i32_e32 v58, v58, v30
	s_mov_b64 s[30:31], 0
	s_waitcnt lgkmcnt(0)
	v_readfirstlane_b32 vcc_lo, v12
	v_readfirstlane_b32 vcc_hi, v13
	s_cmp_eq_u64 vcc, 0
	s_cselect_b64 vcc, -1, 0
	s_or_b64 vcc, vcc, vcc
	s_and_b64 vcc, exec, vcc
	s_cbranch_vccnz .LBB4_733
; %bb.701:                              ;   in Loop: Header=BB4_79 Depth=1
	s_mov_b64 s[30:31], -1
	s_and_saveexec_b64 s[60:61], s[18:19]
	s_cbranch_execz .LBB4_703
; %bb.702:                              ;   in Loop: Header=BB4_79 Depth=1
	ds_read_b32 v2, v0 offset:720
	s_waitcnt lgkmcnt(0)
	v_and_b32_e32 v2, 15, v2
	v_cmp_eq_u32_e32 vcc, 0, v2
	s_orn2_b64 s[30:31], vcc, exec
.LBB4_703:                              ;   in Loop: Header=BB4_79 Depth=1
	s_or_b64 exec, exec, s[60:61]
	s_and_saveexec_b64 s[60:61], s[22:23]
	s_cbranch_execz .LBB4_705
; %bb.704:                              ;   in Loop: Header=BB4_79 Depth=1
	ds_read_b32 v2, v0 offset:784
	s_waitcnt lgkmcnt(0)
	v_and_b32_e32 v2, 15, v2
	v_cmp_eq_u32_e32 vcc, 0, v2
	s_and_b64 vcc, s[30:31], vcc
	s_andn2_b64 s[30:31], s[30:31], exec
	s_and_b64 vcc, vcc, exec
	s_or_b64 s[30:31], s[30:31], vcc
.LBB4_705:                              ;   in Loop: Header=BB4_79 Depth=1
	s_or_b64 exec, exec, s[60:61]
	v_cmp_eq_u32_e32 vcc, 0, v10
	v_mov_b32_e32 v56, 0
	s_mov_b64 s[62:63], -1
	v_cndmask_b32_e32 v2, 0, v58, vcc
	s_xor_b64 vcc, s[30:31], -1
	v_cndmask_b32_e64 v10, 0, 1, vcc
	;;#ASMSTART
	;;#ASMEND
	v_mov_b32_e32 v31, v2
	v_cmp_ne_u32_e32 vcc, 0, v10
	v_mov_b32_e32 v22, v0
	v_mov_b32_e32 v12, v57
	s_cbranch_vccnz .LBB4_719
; %bb.706:                              ;   in Loop: Header=BB4_79 Depth=1
	v_ashrrev_i32_e32 v10, 31, v2
	v_lshrrev_b32_e32 v10, 21, v10
	v_add_u32_e32 v10, v2, v10
	v_ashrrev_i32_e32 v16, 11, v10
	v_sub_u32_e32 v17, v16, v57
	v_cmp_lt_i32_e32 vcc, 0, v17
	s_and_saveexec_b64 s[30:31], vcc
	s_cbranch_execz .LBB4_710
; %bb.707:                              ;   in Loop: Header=BB4_79 Depth=1
	s_trap 2
	ds_read_b64 v[10:11], v0
	v_accvgpr_read_b32 v12, a20
	s_mov_b64 s[60:61], 0
	v_accvgpr_read_b32 v13, a21
.LBB4_708:                              ;   Parent Loop BB4_79 Depth=1
                                        ; =>  This Inner Loop Header: Depth=2
	s_waitcnt lgkmcnt(0)
	v_lshl_add_u64 v[50:51], v[10:11], 0, v[12:13]
	global_load_dwordx4 v[24:27], v[50:51], off nt
	global_load_dwordx4 v[54:57], v[50:51], off offset:1024 nt
	v_sub_u32_e32 v17, v17, v34
	v_cmp_gt_i32_e32 vcc, 1, v17
	v_lshl_add_u64 v[12:13], v[12:13], 0, v[44:45]
	s_or_b64 s[60:61], vcc, s[60:61]
	s_waitcnt vmcnt(0)
	global_store_dwordx4 v[50:51], v[24:27], off nt
	global_store_dwordx4 v[50:51], v[54:57], off offset:1024 nt
	s_andn2_b64 exec, exec, s[60:61]
	s_cbranch_execnz .LBB4_708
; %bb.709:                              ;   in Loop: Header=BB4_79 Depth=1
	s_or_b64 exec, exec, s[60:61]
	v_accvgpr_read_b32 v55, a9
	v_accvgpr_read_b32 v54, a8
	;; [unrolled: 1-line block ×3, first 2 shown]
.LBB4_710:                              ;   in Loop: Header=BB4_79 Depth=1
	s_or_b64 exec, exec, s[30:31]
	v_lshlrev_b32_e32 v16, 11, v16
	v_cmp_ne_u32_e32 vcc, v2, v16
	s_mov_b64 s[62:63], 0
	v_mov_b32_e32 v56, 0
                                        ; implicit-def: $vgpr31
                                        ; implicit-def: $vgpr22
                                        ; implicit-def: $vgpr12
	s_and_saveexec_b64 s[60:61], vcc
	s_cbranch_execz .LBB4_718
; %bb.711:                              ;   in Loop: Header=BB4_79 Depth=1
	v_lshlrev_b32_e32 v11, 6, v17
	v_accvgpr_read_b32 v12, a17
	v_sub_u32_e32 v11, v12, v11
	v_ashrrev_i32_e32 v12, 31, v11
	v_lshrrev_b32_e32 v12, 26, v12
	v_add_u32_e32 v12, v11, v12
	v_ashrrev_i32_e32 v13, 6, v12
	v_and_b32_e32 v12, 0xffffffc0, v12
	v_sub_u32_e32 v17, v11, v12
	v_sub_u32_e32 v10, v2, v16
	v_lshlrev_b32_e32 v11, 4, v17
	v_lshl_add_u32 v12, v13, 10, v11
	v_ashrrev_i32_e32 v11, 31, v10
	v_lshrrev_b32_e32 v11, 22, v11
	v_add_u32_e32 v11, v10, v11
	v_and_b32_e32 v36, 0xfffffc00, v11
	v_sub_u32_e32 v51, v10, v36
	v_ashrrev_i32_e32 v24, 10, v11
	v_cmp_lt_i32_e32 vcc, 15, v51
	v_sub_u32_e32 v22, v10, v12
	s_nop 0
	v_addc_co_u32_e64 v10, s[30:31], 0, v24, vcc
	v_sub_u32_e32 v50, v10, v13
	v_cmp_lt_i32_e64 s[30:31], 15, v22
	s_and_saveexec_b64 s[62:63], s[30:31]
	s_cbranch_execz .LBB4_715
; %bb.712:                              ;   in Loop: Header=BB4_79 Depth=1
	s_trap 2
	ds_read_b64 v[10:11], v0
	v_add_u32_e32 v12, v12, v16
	v_ashrrev_i32_e32 v13, 31, v12
	s_mov_b64 s[64:65], 0
.LBB4_713:                              ;   Parent Loop BB4_79 Depth=1
                                        ; =>  This Inner Loop Header: Depth=2
	s_waitcnt lgkmcnt(0)
	v_lshl_add_u64 v[54:55], v[10:11], 0, v[12:13]
	global_load_dwordx4 v[24:27], v[54:55], off nt
	v_sub_u32_e32 v22, v22, v37
	v_cmp_gt_i32_e64 s[30:31], 16, v22
	v_sub_u32_e32 v50, v50, v34
	v_lshl_add_u64 v[12:13], v[12:13], 0, v[46:47]
	s_or_b64 s[64:65], s[30:31], s[64:65]
	s_waitcnt vmcnt(0)
	global_store_dwordx4 v[54:55], v[24:27], off nt
	s_andn2_b64 exec, exec, s[64:65]
	s_cbranch_execnz .LBB4_713
; %bb.714:                              ;   in Loop: Header=BB4_79 Depth=1
	s_or_b64 exec, exec, s[64:65]
	v_accvgpr_read_b32 v55, a9
	v_accvgpr_read_b32 v54, a8
.LBB4_715:                              ;   in Loop: Header=BB4_79 Depth=1
	s_or_b64 exec, exec, s[62:63]
	v_and_b32_e32 v10, 15, v2
	v_cndmask_b32_e32 v31, v51, v10, vcc
	v_cmp_ne_u32_e64 s[30:31], 0, v31
	s_mov_b64 s[62:63], 0
	v_mov_b32_e32 v56, 0
                                        ; implicit-def: $vgpr22
                                        ; implicit-def: $vgpr12
	s_and_saveexec_b64 s[64:65], s[30:31]
	s_cbranch_execz .LBB4_717
; %bb.716:                              ;   in Loop: Header=BB4_79 Depth=1
	v_sub_u32_e32 v10, v51, v10
	v_cndmask_b32_e32 v10, 0, v10, vcc
	v_cmp_lt_i32_e32 vcc, 0, v50
	v_add3_u32 v56, v36, v16, v10
	s_mov_b64 s[62:63], exec
	v_cndmask_b32_e32 v10, 0, v34, vcc
	v_sub_u32_e32 v10, v10, v50
	v_lshl_add_u32 v22, v10, 6, v17
	v_ashrrev_i32_e32 v10, 31, v22
	v_lshrrev_b32_e32 v10, 26, v10
	v_add_u32_e32 v10, v22, v10
	v_ashrrev_i32_e32 v12, 6, v10
.LBB4_717:                              ;   in Loop: Header=BB4_79 Depth=1
	s_or_b64 exec, exec, s[64:65]
	s_and_b64 s[62:63], s[62:63], exec
.LBB4_718:                              ;   in Loop: Header=BB4_79 Depth=1
	s_or_b64 exec, exec, s[60:61]
.LBB4_719:                              ;   in Loop: Header=BB4_79 Depth=1
	s_and_saveexec_b64 s[30:31], s[62:63]
	s_cbranch_execz .LBB4_728
; %bb.720:                              ;   in Loop: Header=BB4_79 Depth=1
	v_ashrrev_i32_e32 v10, 31, v31
	v_lshrrev_b32_e32 v10, 23, v10
	v_add_u32_e32 v10, v31, v10
	v_ashrrev_i32_e32 v51, 9, v10
	v_sub_u32_e32 v36, v51, v12
	v_ashrrev_i32_e32 v10, 31, v22
	v_cmp_lt_i32_e32 vcc, 0, v36
	v_lshrrev_b32_e32 v50, 26, v10
	s_and_saveexec_b64 s[60:61], vcc
	s_cbranch_execz .LBB4_724
; %bb.721:                              ;   in Loop: Header=BB4_79 Depth=1
	s_trap 2
	ds_read_b64 v[10:11], v0
	v_add_u32_e32 v13, v22, v50
	v_and_b32_e32 v13, 0xffffffc0, v13
	v_sub_u32_e32 v13, v22, v13
	v_lshlrev_b32_e32 v12, 9, v12
	v_add3_u32 v12, v56, v13, v12
	v_ashrrev_i32_e32 v13, 31, v12
	s_mov_b64 s[62:63], 0
	s_waitcnt lgkmcnt(0)
	v_mov_b64_e32 v[16:17], v[10:11]
.LBB4_722:                              ;   Parent Loop BB4_79 Depth=1
                                        ; =>  This Inner Loop Header: Depth=2
	v_lshl_add_u64 v[24:25], v[12:13], 0, v[16:17]
	flat_load_ubyte v26, v[24:25] nt
	flat_load_ubyte v27, v[24:25] offset:64 nt
	flat_load_ubyte v54, v[24:25] offset:128 nt
	;; [unrolled: 1-line block ×7, first 2 shown]
	v_sub_u32_e32 v36, v36, v34
	v_cmp_gt_i32_e32 vcc, 1, v36
	v_lshl_add_u64 v[24:25], v[12:13], 0, v[10:11]
	v_lshl_add_u64 v[16:17], v[16:17], 0, v[40:41]
	v_lshl_add_u64 v[10:11], v[10:11], 0, v[40:41]
	s_or_b64 s[62:63], vcc, s[62:63]
	s_waitcnt vmcnt(0) lgkmcnt(0)
	flat_store_byte v[24:25], v26 nt
	flat_store_byte v[24:25], v27 offset:64 nt
	flat_store_byte v[24:25], v54 offset:128 nt
	;; [unrolled: 1-line block ×7, first 2 shown]
	s_andn2_b64 exec, exec, s[62:63]
	s_cbranch_execnz .LBB4_722
; %bb.723:                              ;   in Loop: Header=BB4_79 Depth=1
	s_or_b64 exec, exec, s[62:63]
	v_accvgpr_read_b32 v55, a9
	v_accvgpr_read_b32 v60, a6
	;; [unrolled: 1-line block ×3, first 2 shown]
	v_mov_b32_e32 v61, 1
	v_accvgpr_read_b32 v57, a16
.LBB4_724:                              ;   in Loop: Header=BB4_79 Depth=1
	s_or_b64 exec, exec, s[60:61]
	v_lshlrev_b32_e32 v10, 9, v51
	v_cmp_ne_u32_e32 vcc, v31, v10
	s_and_b64 exec, exec, vcc
	s_cbranch_execz .LBB4_728
; %bb.725:                              ;   in Loop: Header=BB4_79 Depth=1
	v_add_u32_e32 v11, v22, v50
	v_and_b32_e32 v11, 0xffffffc0, v11
	v_sub_u32_e32 v11, v22, v11
	v_lshlrev_b32_e32 v12, 6, v36
	v_sub_u32_e32 v11, v11, v12
	v_add_u32_e32 v12, v10, v11
	v_sub_u32_e32 v16, v31, v12
	v_cmp_lt_i32_e32 vcc, 0, v16
	s_and_b64 exec, exec, vcc
	s_cbranch_execz .LBB4_728
; %bb.726:                              ;   in Loop: Header=BB4_79 Depth=1
	s_trap 2
	ds_read_b64 v[10:11], v0
	v_add_u32_e32 v12, v12, v56
	v_ashrrev_i32_e32 v13, 31, v12
	s_mov_b64 s[60:61], 0
.LBB4_727:                              ;   Parent Loop BB4_79 Depth=1
                                        ; =>  This Inner Loop Header: Depth=2
	s_waitcnt lgkmcnt(0)
	v_lshl_add_u64 v[24:25], v[10:11], 0, v[12:13]
	flat_load_ubyte v17, v[24:25] nt
	v_sub_u32_e32 v16, v16, v1
	v_cmp_gt_i32_e32 vcc, 1, v16
	v_lshl_add_u64 v[12:13], v[12:13], 0, v[42:43]
	s_or_b64 s[60:61], vcc, s[60:61]
	s_waitcnt vmcnt(0) lgkmcnt(0)
	flat_store_byte v[24:25], v17 nt
	s_andn2_b64 exec, exec, s[60:61]
	s_cbranch_execnz .LBB4_727
.LBB4_728:                              ;   in Loop: Header=BB4_79 Depth=1
	s_or_b64 exec, exec, s[30:31]
	v_accvgpr_read_b32 v51, a15
	v_cmp_lt_i32_e64 s[30:31], 0, v2
	v_accvgpr_read_b32 v50, a14
	s_and_saveexec_b64 s[60:61], s[10:11]
	s_cbranch_execnz .LBB4_734
.LBB4_729:                              ;   in Loop: Header=BB4_79 Depth=1
	s_or_b64 exec, exec, s[60:61]
	s_and_saveexec_b64 vcc, s[24:25]
	s_xor_b64 s[60:61], exec, vcc
	s_cbranch_execz .LBB4_805
.LBB4_730:                              ;   in Loop: Header=BB4_79 Depth=1
	v_and_b32_e32 v2, 16, v62
	v_cmp_ne_u32_e32 vcc, 0, v2
	s_and_b64 s[30:31], vcc, s[30:31]
	s_and_saveexec_b64 vcc, s[30:31]
	s_cbranch_execz .LBB4_732
; %bb.731:                              ;   in Loop: Header=BB4_79 Depth=1
	buffer_wbl2 sc1
	s_waitcnt vmcnt(0) lgkmcnt(0)
	buffer_inv sc1
.LBB4_732:                              ;   in Loop: Header=BB4_79 Depth=1
	s_or_b64 exec, exec, vcc
	s_andn2_saveexec_b64 s[30:31], s[60:61]
	s_cbranch_execz .LBB4_843
	s_branch .LBB4_806
.LBB4_733:                              ;   in Loop: Header=BB4_79 Depth=1
	s_and_saveexec_b64 s[60:61], s[10:11]
	s_cbranch_execz .LBB4_729
.LBB4_734:                              ;   in Loop: Header=BB4_79 Depth=1
	s_and_saveexec_b64 vcc, s[46:47]
	s_xor_b64 s[62:63], exec, vcc
	s_cbranch_execz .LBB4_802
; %bb.735:                              ;   in Loop: Header=BB4_79 Depth=1
	s_and_saveexec_b64 s[64:65], s[16:17]
	s_cbranch_execz .LBB4_801
; %bb.736:                              ;   in Loop: Header=BB4_79 Depth=1
	s_mov_b64 s[68:69], exec
	v_mbcnt_lo_u32_b32 v2, s68, 0
	v_mbcnt_hi_u32_b32 v2, s69, v2
	v_cmp_eq_u32_e32 vcc, 0, v2
	s_waitcnt lgkmcnt(0)
	s_and_saveexec_b64 s[66:67], vcc
	s_cbranch_execz .LBB4_738
; %bb.737:                              ;   in Loop: Header=BB4_79 Depth=1
	s_bcnt1_i32_b64 vcc_lo, s[68:69]
	v_mov_b32_e32 v2, vcc_lo
	ds_add_u64 v0, v[2:3]
	s_trap 2
.LBB4_738:                              ;   in Loop: Header=BB4_79 Depth=1
	s_or_b64 exec, exec, s[66:67]
	s_trap 2
	ds_read_b64 v[10:11], v0
	v_lshl_add_u64 v[28:29], v[28:29], 0, v[34:35]
	s_waitcnt lgkmcnt(0)
	v_cmp_lt_u64_e32 vcc, v[10:11], v[28:29]
	s_and_saveexec_b64 s[66:67], vcc
	s_cbranch_execz .LBB4_800
; %bb.739:                              ;   in Loop: Header=BB4_79 Depth=1
	s_mov_b32 s78, 0
	s_mov_b64 s[68:69], 0
                                        ; implicit-def: $sgpr70_sgpr71
                                        ; implicit-def: $sgpr72_sgpr73
	s_branch .LBB4_741
.LBB4_740:                              ;   in Loop: Header=BB4_741 Depth=2
	s_or_b64 exec, exec, s[76:77]
	s_and_b64 vcc, exec, vcc
	s_or_b64 s[68:69], vcc, s[68:69]
	s_andn2_b64 vcc, s[70:71], exec
	s_and_b64 s[70:71], s[72:73], exec
	s_or_b64 s[70:71], vcc, s[70:71]
	s_andn2_b64 exec, exec, s[68:69]
	s_cbranch_execz .LBB4_798
.LBB4_741:                              ;   Parent Loop BB4_79 Depth=1
                                        ; =>  This Inner Loop Header: Depth=2
	s_add_i32 s78, s78, 1
	s_cmpk_lg_i32 s78, 0x2710
	s_cselect_b64 s[74:75], -1, 0
	s_and_b64 vcc, exec, s[74:75]
                                        ; implicit-def: $sgpr76_sgpr77
	s_cbranch_vccnz .LBB4_743
; %bb.742:                              ;   in Loop: Header=BB4_741 Depth=2
	s_trap 2
	ds_read_b64 v[10:11], v0
	s_andn2_b64 s[74:75], s[74:75], exec
	s_mov_b32 s78, 0
	s_mov_b64 s[76:77], -1
	s_waitcnt vmcnt(0) lgkmcnt(0)
	flat_load_dword v2, v[10:11] sc0 sc1
	s_waitcnt vmcnt(0) lgkmcnt(0)
	buffer_inv sc0 sc1
	v_cmp_eq_u32_e32 vcc, 0, v2
	s_and_b64 vcc, vcc, exec
	s_or_b64 s[74:75], s[74:75], vcc
.LBB4_743:                              ;   in Loop: Header=BB4_741 Depth=2
	s_andn2_b64 s[72:73], s[72:73], exec
	s_and_b64 s[76:77], s[76:77], exec
	s_mov_b64 vcc, -1
	s_or_b64 s[72:73], s[72:73], s[76:77]
	s_and_saveexec_b64 s[76:77], s[74:75]
	s_cbranch_execz .LBB4_740
; %bb.744:                              ;   in Loop: Header=BB4_741 Depth=2
	s_sleep 1
	s_trap 2
	ds_read_b64 v[10:11], v0
	s_andn2_b64 s[72:73], s[72:73], exec
	s_waitcnt lgkmcnt(0)
	v_cmp_ge_u64_e32 vcc, v[10:11], v[28:29]
	s_orn2_b64 vcc, vcc, exec
	s_branch .LBB4_740
.LBB4_745:                              ;   in Loop: Header=BB4_79 Depth=1
	s_or_b64 exec, exec, s[68:69]
	s_and_saveexec_b64 vcc, s[70:71]
	s_xor_b64 vcc, exec, vcc
	s_cbranch_execz .LBB4_747
; %bb.746:                              ;   in Loop: Header=BB4_79 Depth=1
	ds_write_b32 v0, v61
	s_trap 2
.LBB4_747:                              ;   in Loop: Header=BB4_79 Depth=1
	s_or_b64 exec, exec, s[66:67]
	;;#ASMSTART
	s_wakeup
	;;#ASMEND
.LBB4_748:                              ;   in Loop: Header=BB4_79 Depth=1
	s_or_b64 exec, exec, s[64:65]
.LBB4_749:                              ;   in Loop: Header=BB4_79 Depth=1
	s_andn2_saveexec_b64 vcc, s[62:63]
	s_cbranch_execz .LBB4_751
; %bb.750:                              ;   in Loop: Header=BB4_79 Depth=1
	s_waitcnt lgkmcnt(0)
	s_barrier
.LBB4_751:                              ;   in Loop: Header=BB4_79 Depth=1
	s_or_b64 exec, exec, vcc
.LBB4_752:                              ;   in Loop: Header=BB4_79 Depth=1
	s_or_b64 exec, exec, s[28:29]
	s_trap 2
	ds_read_b64 v[12:13], v0
	s_waitcnt lgkmcnt(0)
	v_readfirstlane_b32 s28, v12
	v_readfirstlane_b32 s29, v13
	s_cmp_eq_u64 s[28:29], 0
	s_cselect_b64 s[28:29], -1, 0
	s_or_b64 vcc, s[28:29], s[28:29]
	s_mov_b64 s[28:29], 0
	s_and_b64 vcc, exec, vcc
	s_cbranch_vccnz .LBB4_786
; %bb.753:                              ;   in Loop: Header=BB4_79 Depth=1
	s_mov_b64 s[28:29], -1
	s_and_saveexec_b64 s[62:63], s[22:23]
	s_cbranch_execz .LBB4_755
; %bb.754:                              ;   in Loop: Header=BB4_79 Depth=1
	ds_read_b32 v2, v0 offset:720
	s_waitcnt lgkmcnt(0)
	v_and_b32_e32 v2, 15, v2
	v_cmp_eq_u32_e32 vcc, 0, v2
	s_orn2_b64 s[28:29], vcc, exec
.LBB4_755:                              ;   in Loop: Header=BB4_79 Depth=1
	s_or_b64 exec, exec, s[62:63]
	s_and_saveexec_b64 s[62:63], s[18:19]
	s_cbranch_execz .LBB4_757
; %bb.756:                              ;   in Loop: Header=BB4_79 Depth=1
	ds_read_b32 v2, v0 offset:784
	s_waitcnt lgkmcnt(0)
	v_and_b32_e32 v2, 15, v2
	v_cmp_eq_u32_e32 vcc, 0, v2
	s_and_b64 vcc, s[28:29], vcc
	s_andn2_b64 s[28:29], s[28:29], exec
	s_and_b64 vcc, vcc, exec
	s_or_b64 s[28:29], s[28:29], vcc
.LBB4_757:                              ;   in Loop: Header=BB4_79 Depth=1
	s_or_b64 exec, exec, s[62:63]
	v_cmp_eq_u32_e32 vcc, 0, v10
	s_xor_b64 s[28:29], s[28:29], -1
	v_cndmask_b32_e64 v10, 0, 1, s[28:29]
	v_cndmask_b32_e32 v2, 0, v58, vcc
	v_mov_b32_e32 v56, 0
	s_mov_b64 s[64:65], -1
	;;#ASMSTART
	;;#ASMEND
	v_mov_b32_e32 v31, v2
	v_cmp_ne_u32_e32 vcc, 0, v10
	v_mov_b32_e32 v22, v0
	v_mov_b32_e32 v12, v57
	s_cbranch_vccnz .LBB4_771
; %bb.758:                              ;   in Loop: Header=BB4_79 Depth=1
	v_ashrrev_i32_e32 v10, 31, v2
	v_lshrrev_b32_e32 v10, 21, v10
	v_add_u32_e32 v10, v2, v10
	v_ashrrev_i32_e32 v16, 11, v10
	v_sub_u32_e32 v17, v16, v57
	v_cmp_lt_i32_e32 vcc, 0, v17
	s_and_saveexec_b64 s[28:29], vcc
	s_cbranch_execz .LBB4_762
; %bb.759:                              ;   in Loop: Header=BB4_79 Depth=1
	s_trap 2
	ds_read_b64 v[10:11], v0
	v_accvgpr_read_b32 v12, a20
	s_mov_b64 s[62:63], 0
	v_accvgpr_read_b32 v13, a21
.LBB4_760:                              ;   Parent Loop BB4_79 Depth=1
                                        ; =>  This Inner Loop Header: Depth=2
	s_waitcnt lgkmcnt(0)
	v_lshl_add_u64 v[50:51], v[10:11], 0, v[12:13]
	global_load_dwordx4 v[54:57], v[50:51], off nt
	global_load_dwordx4 v[24:27], v[50:51], off offset:1024 nt
	v_sub_u32_e32 v17, v17, v34
	v_cmp_gt_i32_e32 vcc, 1, v17
	v_lshl_add_u64 v[12:13], v[12:13], 0, v[44:45]
	s_or_b64 s[62:63], vcc, s[62:63]
	s_waitcnt vmcnt(0)
	global_store_dwordx4 v[50:51], v[54:57], off nt
	global_store_dwordx4 v[50:51], v[24:27], off offset:1024 nt
	s_andn2_b64 exec, exec, s[62:63]
	s_cbranch_execnz .LBB4_760
; %bb.761:                              ;   in Loop: Header=BB4_79 Depth=1
	s_or_b64 exec, exec, s[62:63]
	v_accvgpr_read_b32 v55, a9
	v_accvgpr_read_b32 v54, a8
	;; [unrolled: 1-line block ×3, first 2 shown]
.LBB4_762:                              ;   in Loop: Header=BB4_79 Depth=1
	s_or_b64 exec, exec, s[28:29]
	v_lshlrev_b32_e32 v16, 11, v16
	v_cmp_ne_u32_e32 vcc, v2, v16
	s_mov_b64 s[64:65], 0
	v_mov_b32_e32 v56, 0
                                        ; implicit-def: $vgpr31
                                        ; implicit-def: $vgpr22
                                        ; implicit-def: $vgpr12
	s_and_saveexec_b64 s[62:63], vcc
	s_cbranch_execz .LBB4_770
; %bb.763:                              ;   in Loop: Header=BB4_79 Depth=1
	v_lshlrev_b32_e32 v11, 6, v17
	v_accvgpr_read_b32 v12, a17
	v_sub_u32_e32 v11, v12, v11
	v_ashrrev_i32_e32 v12, 31, v11
	v_lshrrev_b32_e32 v12, 26, v12
	v_add_u32_e32 v12, v11, v12
	v_ashrrev_i32_e32 v13, 6, v12
	v_and_b32_e32 v12, 0xffffffc0, v12
	v_sub_u32_e32 v17, v11, v12
	v_sub_u32_e32 v10, v2, v16
	v_lshlrev_b32_e32 v11, 4, v17
	v_lshl_add_u32 v12, v13, 10, v11
	v_ashrrev_i32_e32 v11, 31, v10
	v_lshrrev_b32_e32 v11, 22, v11
	v_add_u32_e32 v11, v10, v11
	v_and_b32_e32 v36, 0xfffffc00, v11
	v_sub_u32_e32 v51, v10, v36
	v_ashrrev_i32_e32 v24, 10, v11
	v_cmp_lt_i32_e32 vcc, 15, v51
	v_sub_u32_e32 v22, v10, v12
	s_nop 0
	v_addc_co_u32_e64 v10, s[28:29], 0, v24, vcc
	v_sub_u32_e32 v50, v10, v13
	v_cmp_lt_i32_e64 s[28:29], 15, v22
	s_and_saveexec_b64 s[64:65], s[28:29]
	s_cbranch_execz .LBB4_767
; %bb.764:                              ;   in Loop: Header=BB4_79 Depth=1
	s_trap 2
	ds_read_b64 v[10:11], v0
	v_add_u32_e32 v12, v12, v16
	v_ashrrev_i32_e32 v13, 31, v12
	s_mov_b64 s[66:67], 0
.LBB4_765:                              ;   Parent Loop BB4_79 Depth=1
                                        ; =>  This Inner Loop Header: Depth=2
	s_waitcnt lgkmcnt(0)
	v_lshl_add_u64 v[54:55], v[10:11], 0, v[12:13]
	global_load_dwordx4 v[24:27], v[54:55], off nt
	v_sub_u32_e32 v22, v22, v37
	v_cmp_gt_i32_e64 s[28:29], 16, v22
	v_sub_u32_e32 v50, v50, v34
	v_lshl_add_u64 v[12:13], v[12:13], 0, v[46:47]
	s_or_b64 s[66:67], s[28:29], s[66:67]
	s_waitcnt vmcnt(0)
	global_store_dwordx4 v[54:55], v[24:27], off nt
	s_andn2_b64 exec, exec, s[66:67]
	s_cbranch_execnz .LBB4_765
; %bb.766:                              ;   in Loop: Header=BB4_79 Depth=1
	s_or_b64 exec, exec, s[66:67]
	v_accvgpr_read_b32 v55, a9
	v_accvgpr_read_b32 v54, a8
.LBB4_767:                              ;   in Loop: Header=BB4_79 Depth=1
	s_or_b64 exec, exec, s[64:65]
	v_and_b32_e32 v10, 15, v2
	v_cndmask_b32_e32 v31, v51, v10, vcc
	v_cmp_ne_u32_e64 s[28:29], 0, v31
	s_mov_b64 s[64:65], 0
	v_mov_b32_e32 v56, 0
                                        ; implicit-def: $vgpr22
                                        ; implicit-def: $vgpr12
	s_and_saveexec_b64 s[66:67], s[28:29]
	s_cbranch_execz .LBB4_769
; %bb.768:                              ;   in Loop: Header=BB4_79 Depth=1
	v_sub_u32_e32 v10, v51, v10
	v_cndmask_b32_e32 v10, 0, v10, vcc
	v_cmp_lt_i32_e32 vcc, 0, v50
	v_add3_u32 v56, v36, v16, v10
	s_mov_b64 s[64:65], exec
	v_cndmask_b32_e32 v10, 0, v34, vcc
	v_sub_u32_e32 v10, v10, v50
	v_lshl_add_u32 v22, v10, 6, v17
	v_ashrrev_i32_e32 v10, 31, v22
	v_lshrrev_b32_e32 v10, 26, v10
	v_add_u32_e32 v10, v22, v10
	v_ashrrev_i32_e32 v12, 6, v10
.LBB4_769:                              ;   in Loop: Header=BB4_79 Depth=1
	s_or_b64 exec, exec, s[66:67]
	s_and_b64 s[64:65], s[64:65], exec
.LBB4_770:                              ;   in Loop: Header=BB4_79 Depth=1
	s_or_b64 exec, exec, s[62:63]
.LBB4_771:                              ;   in Loop: Header=BB4_79 Depth=1
	s_and_saveexec_b64 s[28:29], s[64:65]
	s_cbranch_execz .LBB4_780
; %bb.772:                              ;   in Loop: Header=BB4_79 Depth=1
	v_ashrrev_i32_e32 v10, 31, v31
	v_lshrrev_b32_e32 v10, 23, v10
	v_add_u32_e32 v10, v31, v10
	v_ashrrev_i32_e32 v51, 9, v10
	v_sub_u32_e32 v36, v51, v12
	v_ashrrev_i32_e32 v10, 31, v22
	v_cmp_lt_i32_e32 vcc, 0, v36
	v_lshrrev_b32_e32 v50, 26, v10
	s_and_saveexec_b64 s[62:63], vcc
	s_cbranch_execz .LBB4_776
; %bb.773:                              ;   in Loop: Header=BB4_79 Depth=1
	s_trap 2
	ds_read_b64 v[10:11], v0
	v_add_u32_e32 v13, v22, v50
	v_and_b32_e32 v13, 0xffffffc0, v13
	v_sub_u32_e32 v13, v22, v13
	v_lshlrev_b32_e32 v12, 9, v12
	v_add3_u32 v12, v56, v13, v12
	v_ashrrev_i32_e32 v13, 31, v12
	s_mov_b64 s[64:65], 0
	s_waitcnt lgkmcnt(0)
	v_mov_b64_e32 v[16:17], v[10:11]
.LBB4_774:                              ;   Parent Loop BB4_79 Depth=1
                                        ; =>  This Inner Loop Header: Depth=2
	v_lshl_add_u64 v[24:25], v[12:13], 0, v[16:17]
	flat_load_ubyte v26, v[24:25] nt
	flat_load_ubyte v27, v[24:25] offset:64 nt
	flat_load_ubyte v54, v[24:25] offset:128 nt
	;; [unrolled: 1-line block ×7, first 2 shown]
	v_sub_u32_e32 v36, v36, v34
	v_cmp_gt_i32_e32 vcc, 1, v36
	v_lshl_add_u64 v[24:25], v[12:13], 0, v[10:11]
	v_lshl_add_u64 v[16:17], v[16:17], 0, v[40:41]
	;; [unrolled: 1-line block ×3, first 2 shown]
	s_or_b64 s[64:65], vcc, s[64:65]
	s_waitcnt vmcnt(0) lgkmcnt(0)
	flat_store_byte v[24:25], v26 nt
	flat_store_byte v[24:25], v27 offset:64 nt
	flat_store_byte v[24:25], v54 offset:128 nt
	;; [unrolled: 1-line block ×7, first 2 shown]
	s_andn2_b64 exec, exec, s[64:65]
	s_cbranch_execnz .LBB4_774
; %bb.775:                              ;   in Loop: Header=BB4_79 Depth=1
	s_or_b64 exec, exec, s[64:65]
	v_accvgpr_read_b32 v55, a9
	v_accvgpr_read_b32 v60, a6
	;; [unrolled: 1-line block ×3, first 2 shown]
	v_mov_b32_e32 v61, 1
	v_accvgpr_read_b32 v57, a16
.LBB4_776:                              ;   in Loop: Header=BB4_79 Depth=1
	s_or_b64 exec, exec, s[62:63]
	v_lshlrev_b32_e32 v10, 9, v51
	v_cmp_ne_u32_e32 vcc, v31, v10
	s_and_b64 exec, exec, vcc
	s_cbranch_execz .LBB4_780
; %bb.777:                              ;   in Loop: Header=BB4_79 Depth=1
	v_add_u32_e32 v11, v22, v50
	v_and_b32_e32 v11, 0xffffffc0, v11
	v_sub_u32_e32 v11, v22, v11
	v_lshlrev_b32_e32 v12, 6, v36
	v_sub_u32_e32 v11, v11, v12
	v_add_u32_e32 v12, v10, v11
	v_sub_u32_e32 v16, v31, v12
	v_cmp_lt_i32_e32 vcc, 0, v16
	s_and_b64 exec, exec, vcc
	s_cbranch_execz .LBB4_780
; %bb.778:                              ;   in Loop: Header=BB4_79 Depth=1
	s_trap 2
	ds_read_b64 v[10:11], v0
	v_add_u32_e32 v12, v12, v56
	v_ashrrev_i32_e32 v13, 31, v12
	s_mov_b64 s[62:63], 0
.LBB4_779:                              ;   Parent Loop BB4_79 Depth=1
                                        ; =>  This Inner Loop Header: Depth=2
	s_waitcnt lgkmcnt(0)
	v_lshl_add_u64 v[24:25], v[10:11], 0, v[12:13]
	flat_load_ubyte v17, v[24:25] nt
	v_sub_u32_e32 v16, v16, v1
	v_cmp_gt_i32_e32 vcc, 1, v16
	v_lshl_add_u64 v[12:13], v[12:13], 0, v[42:43]
	s_or_b64 s[62:63], vcc, s[62:63]
	s_waitcnt vmcnt(0) lgkmcnt(0)
	flat_store_byte v[24:25], v17 nt
	s_andn2_b64 exec, exec, s[62:63]
	s_cbranch_execnz .LBB4_779
.LBB4_780:                              ;   in Loop: Header=BB4_79 Depth=1
	s_or_b64 exec, exec, s[28:29]
	v_accvgpr_read_b32 v51, a15
	v_cmp_lt_i32_e64 s[28:29], 0, v2
	v_accvgpr_read_b32 v50, a14
	s_and_saveexec_b64 s[62:63], s[10:11]
	s_cbranch_execnz .LBB4_787
.LBB4_781:                              ;   in Loop: Header=BB4_79 Depth=1
	s_or_b64 exec, exec, s[62:63]
                                        ; implicit-def: $vgpr2
	s_and_saveexec_b64 vcc, s[24:25]
	s_xor_b64 s[62:63], exec, vcc
	s_cbranch_execz .LBB4_824
.LBB4_782:                              ;   in Loop: Header=BB4_79 Depth=1
	v_and_b32_e32 v10, 16, v62
	v_cmp_ne_u32_e32 vcc, 0, v10
	v_and_b32_e32 v2, 16, v62
	s_and_b64 vcc, vcc, s[28:29]
	s_and_saveexec_b64 s[28:29], vcc
	s_cbranch_execz .LBB4_784
; %bb.783:                              ;   in Loop: Header=BB4_79 Depth=1
	v_mov_b32_e32 v2, 1
	buffer_wbl2 sc1
	s_waitcnt vmcnt(0) lgkmcnt(0)
	buffer_inv sc1
.LBB4_784:                              ;   in Loop: Header=BB4_79 Depth=1
	s_or_b64 exec, exec, s[28:29]
	s_andn2_saveexec_b64 s[28:29], s[62:63]
	s_cbranch_execnz .LBB4_825
.LBB4_785:                              ;   in Loop: Header=BB4_79 Depth=1
	s_or_b64 exec, exec, s[28:29]
	v_cmp_ne_u32_e32 vcc, 0, v2
	s_and_saveexec_b64 s[28:29], vcc
	s_cbranch_execnz .LBB4_892
	s_branch .LBB4_895
.LBB4_786:                              ;   in Loop: Header=BB4_79 Depth=1
	s_and_saveexec_b64 s[62:63], s[10:11]
	s_cbranch_execz .LBB4_781
.LBB4_787:                              ;   in Loop: Header=BB4_79 Depth=1
	s_and_saveexec_b64 vcc, s[46:47]
	s_xor_b64 s[64:65], exec, vcc
	s_cbranch_execz .LBB4_821
; %bb.788:                              ;   in Loop: Header=BB4_79 Depth=1
	s_and_saveexec_b64 s[66:67], s[16:17]
	s_cbranch_execz .LBB4_820
; %bb.789:                              ;   in Loop: Header=BB4_79 Depth=1
	s_mov_b64 s[70:71], exec
	v_mbcnt_lo_u32_b32 v2, s70, 0
	v_mbcnt_hi_u32_b32 v2, s71, v2
	v_cmp_eq_u32_e32 vcc, 0, v2
	s_waitcnt lgkmcnt(0)
	s_and_saveexec_b64 s[68:69], vcc
	s_cbranch_execz .LBB4_791
; %bb.790:                              ;   in Loop: Header=BB4_79 Depth=1
	s_bcnt1_i32_b64 vcc_lo, s[70:71]
	v_mov_b32_e32 v2, vcc_lo
	ds_add_u64 v0, v[2:3]
	s_trap 2
.LBB4_791:                              ;   in Loop: Header=BB4_79 Depth=1
	s_or_b64 exec, exec, s[68:69]
	s_trap 2
	ds_read_b64 v[10:11], v0
	v_lshl_add_u64 v[28:29], v[28:29], 0, v[34:35]
	s_waitcnt lgkmcnt(0)
	v_cmp_lt_u64_e32 vcc, v[10:11], v[28:29]
	s_and_saveexec_b64 s[68:69], vcc
	s_cbranch_execz .LBB4_819
; %bb.792:                              ;   in Loop: Header=BB4_79 Depth=1
	s_mov_b32 s84, 0
	s_mov_b64 s[70:71], 0
                                        ; implicit-def: $sgpr72_sgpr73
                                        ; implicit-def: $sgpr74_sgpr75
	s_branch .LBB4_794
.LBB4_793:                              ;   in Loop: Header=BB4_794 Depth=2
	s_or_b64 exec, exec, s[78:79]
	s_and_b64 vcc, exec, vcc
	s_or_b64 s[70:71], vcc, s[70:71]
	s_andn2_b64 vcc, s[72:73], exec
	s_and_b64 s[72:73], s[74:75], exec
	s_or_b64 s[72:73], vcc, s[72:73]
	s_andn2_b64 exec, exec, s[70:71]
	s_cbranch_execz .LBB4_817
.LBB4_794:                              ;   Parent Loop BB4_79 Depth=1
                                        ; =>  This Inner Loop Header: Depth=2
	s_add_i32 s84, s84, 1
	s_cmpk_lg_i32 s84, 0x2710
	s_cselect_b64 s[76:77], -1, 0
	s_and_b64 vcc, exec, s[76:77]
                                        ; implicit-def: $sgpr78_sgpr79
	s_cbranch_vccnz .LBB4_796
; %bb.795:                              ;   in Loop: Header=BB4_794 Depth=2
	s_trap 2
	ds_read_b64 v[10:11], v0
	s_andn2_b64 s[76:77], s[76:77], exec
	s_mov_b32 s84, 0
	s_mov_b64 s[78:79], -1
	s_waitcnt vmcnt(0) lgkmcnt(0)
	flat_load_dword v2, v[10:11] sc0 sc1
	s_waitcnt vmcnt(0) lgkmcnt(0)
	buffer_inv sc0 sc1
	v_cmp_eq_u32_e32 vcc, 0, v2
	s_and_b64 vcc, vcc, exec
	s_or_b64 s[76:77], s[76:77], vcc
.LBB4_796:                              ;   in Loop: Header=BB4_794 Depth=2
	s_andn2_b64 s[74:75], s[74:75], exec
	s_and_b64 s[78:79], s[78:79], exec
	s_mov_b64 vcc, -1
	s_or_b64 s[74:75], s[74:75], s[78:79]
	s_and_saveexec_b64 s[78:79], s[76:77]
	s_cbranch_execz .LBB4_793
; %bb.797:                              ;   in Loop: Header=BB4_794 Depth=2
	s_sleep 1
	s_trap 2
	ds_read_b64 v[10:11], v0
	s_andn2_b64 s[74:75], s[74:75], exec
	s_waitcnt lgkmcnt(0)
	v_cmp_ge_u64_e32 vcc, v[10:11], v[28:29]
	s_orn2_b64 vcc, vcc, exec
	s_branch .LBB4_793
.LBB4_798:                              ;   in Loop: Header=BB4_79 Depth=1
	s_or_b64 exec, exec, s[68:69]
	s_and_saveexec_b64 vcc, s[70:71]
	s_xor_b64 vcc, exec, vcc
	s_cbranch_execz .LBB4_800
; %bb.799:                              ;   in Loop: Header=BB4_79 Depth=1
	ds_write_b32 v0, v61
	s_trap 2
.LBB4_800:                              ;   in Loop: Header=BB4_79 Depth=1
	s_or_b64 exec, exec, s[66:67]
	;;#ASMSTART
	s_wakeup
	;;#ASMEND
.LBB4_801:                              ;   in Loop: Header=BB4_79 Depth=1
	s_or_b64 exec, exec, s[64:65]
.LBB4_802:                              ;   in Loop: Header=BB4_79 Depth=1
	s_andn2_saveexec_b64 vcc, s[62:63]
	s_cbranch_execz .LBB4_804
; %bb.803:                              ;   in Loop: Header=BB4_79 Depth=1
	s_waitcnt lgkmcnt(0)
	s_barrier
.LBB4_804:                              ;   in Loop: Header=BB4_79 Depth=1
	s_or_b64 exec, exec, vcc
	s_or_b64 exec, exec, s[60:61]
	s_and_saveexec_b64 vcc, s[24:25]
	s_xor_b64 s[60:61], exec, vcc
	s_cbranch_execnz .LBB4_730
.LBB4_805:                              ;   in Loop: Header=BB4_79 Depth=1
	s_andn2_saveexec_b64 s[30:31], s[60:61]
	s_cbranch_execz .LBB4_843
.LBB4_806:                              ;   in Loop: Header=BB4_79 Depth=1
	s_and_saveexec_b64 vcc, s[46:47]
	s_xor_b64 s[60:61], exec, vcc
	s_cbranch_execz .LBB4_840
; %bb.807:                              ;   in Loop: Header=BB4_79 Depth=1
	s_and_saveexec_b64 s[62:63], s[16:17]
	s_cbranch_execz .LBB4_839
; %bb.808:                              ;   in Loop: Header=BB4_79 Depth=1
	s_mov_b64 s[66:67], exec
	v_mbcnt_lo_u32_b32 v2, s66, 0
	v_mbcnt_hi_u32_b32 v2, s67, v2
	v_cmp_eq_u32_e32 vcc, 0, v2
	;;#ASMSTART
	s_waitcnt lgkmcnt(0) vmcnt(0)
	;;#ASMEND
	s_and_saveexec_b64 s[64:65], vcc
	s_cbranch_execz .LBB4_810
; %bb.809:                              ;   in Loop: Header=BB4_79 Depth=1
	s_bcnt1_i32_b64 vcc_lo, s[66:67]
	v_mov_b32_e32 v2, vcc_lo
	ds_add_u64 v0, v[2:3]
	s_trap 2
.LBB4_810:                              ;   in Loop: Header=BB4_79 Depth=1
	s_or_b64 exec, exec, s[64:65]
	s_trap 2
	ds_read_b64 v[10:11], v0
	v_lshl_add_u64 v[28:29], v[28:29], 0, v[34:35]
	s_waitcnt lgkmcnt(0)
	v_cmp_lt_u64_e32 vcc, v[10:11], v[28:29]
	s_and_saveexec_b64 s[64:65], vcc
	s_cbranch_execz .LBB4_838
; %bb.811:                              ;   in Loop: Header=BB4_79 Depth=1
	s_mov_b32 s76, 0
	s_mov_b64 s[66:67], 0
                                        ; implicit-def: $sgpr68_sgpr69
                                        ; implicit-def: $sgpr70_sgpr71
	s_branch .LBB4_813
.LBB4_812:                              ;   in Loop: Header=BB4_813 Depth=2
	s_or_b64 exec, exec, s[74:75]
	s_and_b64 vcc, exec, vcc
	s_or_b64 s[66:67], vcc, s[66:67]
	s_andn2_b64 vcc, s[68:69], exec
	s_and_b64 s[68:69], s[70:71], exec
	s_or_b64 s[68:69], vcc, s[68:69]
	s_andn2_b64 exec, exec, s[66:67]
	s_cbranch_execz .LBB4_836
.LBB4_813:                              ;   Parent Loop BB4_79 Depth=1
                                        ; =>  This Inner Loop Header: Depth=2
	s_add_i32 s76, s76, 1
	s_cmpk_lg_i32 s76, 0x2710
	s_cselect_b64 s[72:73], -1, 0
	s_and_b64 vcc, exec, s[72:73]
                                        ; implicit-def: $sgpr74_sgpr75
	s_cbranch_vccnz .LBB4_815
; %bb.814:                              ;   in Loop: Header=BB4_813 Depth=2
	s_trap 2
	ds_read_b64 v[10:11], v0
	s_andn2_b64 s[72:73], s[72:73], exec
	s_mov_b32 s76, 0
	s_mov_b64 s[74:75], -1
	s_waitcnt vmcnt(0) lgkmcnt(0)
	flat_load_dword v2, v[10:11] sc0 sc1
	s_waitcnt vmcnt(0) lgkmcnt(0)
	buffer_inv sc0 sc1
	v_cmp_eq_u32_e32 vcc, 0, v2
	s_and_b64 vcc, vcc, exec
	s_or_b64 s[72:73], s[72:73], vcc
.LBB4_815:                              ;   in Loop: Header=BB4_813 Depth=2
	s_andn2_b64 s[70:71], s[70:71], exec
	s_and_b64 s[74:75], s[74:75], exec
	s_mov_b64 vcc, -1
	s_or_b64 s[70:71], s[70:71], s[74:75]
	s_and_saveexec_b64 s[74:75], s[72:73]
	s_cbranch_execz .LBB4_812
; %bb.816:                              ;   in Loop: Header=BB4_813 Depth=2
	s_sleep 1
	s_trap 2
	ds_read_b64 v[10:11], v0
	s_andn2_b64 s[70:71], s[70:71], exec
	s_waitcnt lgkmcnt(0)
	v_cmp_ge_u64_e32 vcc, v[10:11], v[28:29]
	s_orn2_b64 vcc, vcc, exec
	s_branch .LBB4_812
.LBB4_817:                              ;   in Loop: Header=BB4_79 Depth=1
	s_or_b64 exec, exec, s[70:71]
	s_and_saveexec_b64 vcc, s[72:73]
	s_xor_b64 vcc, exec, vcc
	s_cbranch_execz .LBB4_819
; %bb.818:                              ;   in Loop: Header=BB4_79 Depth=1
	ds_write_b32 v0, v61
	s_trap 2
.LBB4_819:                              ;   in Loop: Header=BB4_79 Depth=1
	s_or_b64 exec, exec, s[68:69]
	;;#ASMSTART
	s_wakeup
	;;#ASMEND
.LBB4_820:                              ;   in Loop: Header=BB4_79 Depth=1
	s_or_b64 exec, exec, s[66:67]
.LBB4_821:                              ;   in Loop: Header=BB4_79 Depth=1
	s_andn2_saveexec_b64 vcc, s[64:65]
	s_cbranch_execz .LBB4_823
; %bb.822:                              ;   in Loop: Header=BB4_79 Depth=1
	s_waitcnt lgkmcnt(0)
	s_barrier
.LBB4_823:                              ;   in Loop: Header=BB4_79 Depth=1
	s_or_b64 exec, exec, vcc
	s_or_b64 exec, exec, s[62:63]
                                        ; implicit-def: $vgpr2
	s_and_saveexec_b64 vcc, s[24:25]
	s_xor_b64 s[62:63], exec, vcc
	s_cbranch_execnz .LBB4_782
.LBB4_824:                              ;   in Loop: Header=BB4_79 Depth=1
	s_andn2_saveexec_b64 s[28:29], s[62:63]
	s_cbranch_execz .LBB4_785
.LBB4_825:                              ;   in Loop: Header=BB4_79 Depth=1
	s_and_saveexec_b64 vcc, s[46:47]
	s_xor_b64 s[62:63], exec, vcc
	s_cbranch_execz .LBB4_889
; %bb.826:                              ;   in Loop: Header=BB4_79 Depth=1
	s_and_saveexec_b64 s[64:65], s[16:17]
	s_cbranch_execz .LBB4_888
; %bb.827:                              ;   in Loop: Header=BB4_79 Depth=1
	s_mov_b64 s[68:69], exec
	v_mbcnt_lo_u32_b32 v2, s68, 0
	v_mbcnt_hi_u32_b32 v2, s69, v2
	v_cmp_eq_u32_e32 vcc, 0, v2
	;;#ASMSTART
	s_waitcnt lgkmcnt(0) vmcnt(0)
	;;#ASMEND
	s_and_saveexec_b64 s[66:67], vcc
	s_cbranch_execz .LBB4_829
; %bb.828:                              ;   in Loop: Header=BB4_79 Depth=1
	s_bcnt1_i32_b64 vcc_lo, s[68:69]
	v_mov_b32_e32 v2, vcc_lo
	ds_add_u64 v0, v[2:3]
	s_trap 2
.LBB4_829:                              ;   in Loop: Header=BB4_79 Depth=1
	s_or_b64 exec, exec, s[66:67]
	s_trap 2
	ds_read_b64 v[10:11], v0
	v_lshl_add_u64 v[28:29], v[28:29], 0, v[34:35]
	s_waitcnt lgkmcnt(0)
	v_cmp_lt_u64_e32 vcc, v[10:11], v[28:29]
	s_and_saveexec_b64 s[66:67], vcc
	s_cbranch_execz .LBB4_887
; %bb.830:                              ;   in Loop: Header=BB4_79 Depth=1
	s_mov_b32 s78, 0
	s_mov_b64 s[68:69], 0
                                        ; implicit-def: $sgpr70_sgpr71
                                        ; implicit-def: $sgpr72_sgpr73
	s_branch .LBB4_832
.LBB4_831:                              ;   in Loop: Header=BB4_832 Depth=2
	s_or_b64 exec, exec, s[76:77]
	s_and_b64 vcc, exec, vcc
	s_or_b64 s[68:69], vcc, s[68:69]
	s_andn2_b64 vcc, s[70:71], exec
	s_and_b64 s[70:71], s[72:73], exec
	s_or_b64 s[70:71], vcc, s[70:71]
	s_andn2_b64 exec, exec, s[68:69]
	s_cbranch_execz .LBB4_885
.LBB4_832:                              ;   Parent Loop BB4_79 Depth=1
                                        ; =>  This Inner Loop Header: Depth=2
	s_add_i32 s78, s78, 1
	s_cmpk_lg_i32 s78, 0x2710
	s_cselect_b64 s[74:75], -1, 0
	s_and_b64 vcc, exec, s[74:75]
                                        ; implicit-def: $sgpr76_sgpr77
	s_cbranch_vccnz .LBB4_834
; %bb.833:                              ;   in Loop: Header=BB4_832 Depth=2
	s_trap 2
	ds_read_b64 v[10:11], v0
	s_andn2_b64 s[74:75], s[74:75], exec
	s_mov_b32 s78, 0
	s_mov_b64 s[76:77], -1
	s_waitcnt vmcnt(0) lgkmcnt(0)
	flat_load_dword v2, v[10:11] sc0 sc1
	s_waitcnt vmcnt(0) lgkmcnt(0)
	buffer_inv sc0 sc1
	v_cmp_eq_u32_e32 vcc, 0, v2
	s_and_b64 vcc, vcc, exec
	s_or_b64 s[74:75], s[74:75], vcc
.LBB4_834:                              ;   in Loop: Header=BB4_832 Depth=2
	s_andn2_b64 s[72:73], s[72:73], exec
	s_and_b64 s[76:77], s[76:77], exec
	s_mov_b64 vcc, -1
	s_or_b64 s[72:73], s[72:73], s[76:77]
	s_and_saveexec_b64 s[76:77], s[74:75]
	s_cbranch_execz .LBB4_831
; %bb.835:                              ;   in Loop: Header=BB4_832 Depth=2
	s_sleep 1
	s_trap 2
	ds_read_b64 v[10:11], v0
	s_andn2_b64 s[72:73], s[72:73], exec
	s_waitcnt lgkmcnt(0)
	v_cmp_ge_u64_e32 vcc, v[10:11], v[28:29]
	s_orn2_b64 vcc, vcc, exec
	s_branch .LBB4_831
.LBB4_836:                              ;   in Loop: Header=BB4_79 Depth=1
	s_or_b64 exec, exec, s[66:67]
	s_and_saveexec_b64 vcc, s[68:69]
	s_xor_b64 vcc, exec, vcc
	s_cbranch_execz .LBB4_838
; %bb.837:                              ;   in Loop: Header=BB4_79 Depth=1
	ds_write_b32 v0, v61
	s_trap 2
.LBB4_838:                              ;   in Loop: Header=BB4_79 Depth=1
	s_or_b64 exec, exec, s[64:65]
	;;#ASMSTART
	s_wakeup
	;;#ASMEND
.LBB4_839:                              ;   in Loop: Header=BB4_79 Depth=1
	s_or_b64 exec, exec, s[62:63]
.LBB4_840:                              ;   in Loop: Header=BB4_79 Depth=1
	s_andn2_saveexec_b64 vcc, s[60:61]
	s_cbranch_execz .LBB4_842
; %bb.841:                              ;   in Loop: Header=BB4_79 Depth=1
	;;#ASMSTART
	s_waitcnt lgkmcnt(0) vmcnt(0)
	;;#ASMEND
	s_barrier
.LBB4_842:                              ;   in Loop: Header=BB4_79 Depth=1
	s_or_b64 exec, exec, vcc
.LBB4_843:                              ;   in Loop: Header=BB4_79 Depth=1
	s_or_b64 exec, exec, s[30:31]
	v_and_b32_e32 v2, 32, v62
	v_cmp_ne_u32_e32 vcc, 0, v2
	s_and_saveexec_b64 s[30:31], vcc
	s_cbranch_execz .LBB4_845
; %bb.844:                              ;   in Loop: Header=BB4_79 Depth=1
	v_lshl_add_u64 v[8:9], v[8:9], 0, 1
	flat_store_dwordx2 v[20:21], v[8:9] sc0 sc1
.LBB4_845:                              ;   in Loop: Header=BB4_79 Depth=1
	s_or_b64 exec, exec, s[30:31]
	v_mov_b32_e32 v16, v58
.LBB4_846:                              ;   in Loop: Header=BB4_79 Depth=1
	s_or_b64 exec, exec, s[56:57]
	s_mov_b64 vcc, s[34:35]
	s_and_saveexec_b64 s[56:57], s[26:27]
	s_cbranch_execz .LBB4_995
; %bb.847:                              ;   in Loop: Header=BB4_79 Depth=1
	v_and_b32_e32 v2, 4, v62
	v_cmp_ne_u32_e32 vcc, 0, v2
	s_mov_b64 s[60:61], -1
	s_and_saveexec_b64 s[30:31], vcc
	s_cbranch_execz .LBB4_857
; %bb.848:                              ;   in Loop: Header=BB4_79 Depth=1
	v_lshl_add_u64 v[10:11], v[8:9], 0, 1
	v_cmp_lt_u64_e32 vcc, v[32:33], v[10:11]
	v_mov_b32_e32 v2, 1
	s_and_saveexec_b64 s[60:61], vcc
	s_cbranch_execz .LBB4_872
; %bb.849:                              ;   in Loop: Header=BB4_79 Depth=1
	s_mov_b64 s[62:63], 0
	v_mov_b32_e32 v2, 0
                                        ; implicit-def: $sgpr64_sgpr65
	s_branch .LBB4_853
.LBB4_850:                              ;   in Loop: Header=BB4_853 Depth=2
	s_or_b64 exec, exec, s[72:73]
	v_mov_b32_e32 v12, 0
	s_orn2_b64 s[70:71], s[70:71], exec
.LBB4_851:                              ;   in Loop: Header=BB4_853 Depth=2
	s_or_b64 exec, exec, s[68:69]
	s_andn2_b64 vcc, s[64:65], exec
	s_and_b64 s[64:65], s[70:71], exec
	s_or_b64 s[64:65], vcc, s[64:65]
	v_mov_b32_e32 v2, v12
.LBB4_852:                              ;   in Loop: Header=BB4_853 Depth=2
	s_or_b64 exec, exec, s[66:67]
	s_waitcnt vmcnt(0) lgkmcnt(0)
	v_cmp_ge_u64_e32 vcc, v[32:33], v[10:11]
	s_xor_b64 s[66:67], s[64:65], -1
	s_or_b64 vcc, s[66:67], vcc
	s_and_b64 vcc, exec, vcc
	s_or_b64 s[62:63], vcc, s[62:63]
	s_andn2_b64 exec, exec, s[62:63]
	s_cbranch_execz .LBB4_871
.LBB4_853:                              ;   Parent Loop BB4_79 Depth=1
                                        ; =>  This Inner Loop Header: Depth=2
	s_sleep 1
	flat_load_dwordx2 v[32:33], v[20:21] sc0 sc1
	v_and_b32_e32 v12, 64, v62
	v_cmp_eq_u32_e32 vcc, 0, v12
	s_andn2_b64 s[64:65], s[64:65], exec
	s_and_saveexec_b64 s[66:67], vcc
	s_cbranch_execz .LBB4_852
; %bb.854:                              ;   in Loop: Header=BB4_853 Depth=2
	v_add_u32_e32 v12, 1, v2
	v_cmp_lt_i32_e32 vcc, s81, v2
	s_mov_b64 s[70:71], -1
	s_and_saveexec_b64 s[68:69], vcc
	s_cbranch_execz .LBB4_851
; %bb.855:                              ;   in Loop: Header=BB4_853 Depth=2
	s_trap 2
	ds_read_b64 v[12:13], v0
	s_waitcnt vmcnt(0) lgkmcnt(0)
	flat_load_dword v2, v[12:13] sc0 sc1
	s_waitcnt vmcnt(0) lgkmcnt(0)
	buffer_inv sc0 sc1
	v_cmp_ne_u32_e32 vcc, 0, v2
	s_and_saveexec_b64 s[72:73], vcc
	s_cbranch_execz .LBB4_850
; %bb.856:                              ;   in Loop: Header=BB4_853 Depth=2
	v_or_b32_e32 v62, 64, v62
	s_xor_b64 s[70:71], exec, -1
	ds_write_b32 v0, v2
	s_trap 2
	s_branch .LBB4_850
.LBB4_857:                              ;   in Loop: Header=BB4_79 Depth=1
	s_or_b64 exec, exec, s[30:31]
	s_xor_b64 vcc, s[60:61], -1
	s_and_saveexec_b64 s[60:61], vcc
	s_cbranch_execz .LBB4_873
.LBB4_858:                              ;   in Loop: Header=BB4_79 Depth=1
	v_and_b32_e32 v2, 0x100, v62
	v_cmp_ne_u32_e32 vcc, 0, v2
	v_and_b32_e32 v2, 7, v8
	s_mov_b64 s[30:31], -1
                                        ; implicit-def: $vgpr10_vgpr11
	s_and_saveexec_b64 s[62:63], vcc
	s_cbranch_execz .LBB4_862
; %bb.859:                              ;   in Loop: Header=BB4_79 Depth=1
	v_mad_u64_u32 v[12:13], vcc, v2, 24, v[6:7]
	flat_load_dword v10, v[12:13]
	s_waitcnt vmcnt(0) lgkmcnt(0)
	v_cmp_ne_u32_e32 vcc, 1, v10
	v_cmp_eq_u32_e64 s[30:31], 1, v10
                                        ; implicit-def: $vgpr10_vgpr11
	s_and_saveexec_b64 s[64:65], s[30:31]
	s_cbranch_execz .LBB4_861
; %bb.860:                              ;   in Loop: Header=BB4_79 Depth=1
	flat_load_dword v10, v[12:13] offset:4 sc0 sc1
	s_waitcnt vmcnt(0) lgkmcnt(0)
	v_ashrrev_i32_e32 v11, 31, v10
.LBB4_861:                              ;   in Loop: Header=BB4_79 Depth=1
	s_or_b64 exec, exec, s[64:65]
	s_orn2_b64 s[30:31], vcc, exec
.LBB4_862:                              ;   in Loop: Header=BB4_79 Depth=1
	s_or_b64 exec, exec, s[62:63]
	s_and_saveexec_b64 vcc, s[30:31]
; %bb.863:                              ;   in Loop: Header=BB4_79 Depth=1
	v_mad_i64_i32 v[10:11], s[30:31], v2, v60, 0
; %bb.864:                              ;   in Loop: Header=BB4_79 Depth=1
	s_or_b64 exec, exec, vcc
	v_and_b32_e32 v2, 0x2000, v62
	v_lshl_add_u64 v[10:11], v[18:19], 0, v[10:11]
	v_cmp_ne_u32_e32 vcc, 0, v2
	ds_write_b64 v0, v[10:11] offset:720
	s_and_saveexec_b64 s[30:31], vcc
	s_cbranch_execz .LBB4_866
; %bb.865:                              ;   in Loop: Header=BB4_79 Depth=1
	ds_read_b64 v[10:11], v0 offset:584
	s_waitcnt lgkmcnt(0)
	v_lshl_add_u64 v[10:11], v[10:11], 0, 1
	ds_write_b64 v0, v[10:11] offset:584
.LBB4_866:                              ;   in Loop: Header=BB4_79 Depth=1
	s_or_b64 exec, exec, s[30:31]
	v_lshl_add_u64 v[8:9], v[8:9], 0, 1
	s_or_b64 exec, exec, s[60:61]
	s_and_saveexec_b64 s[30:31], s[10:11]
	s_cbranch_execnz .LBB4_874
.LBB4_867:                              ;   in Loop: Header=BB4_79 Depth=1
	s_or_b64 exec, exec, s[30:31]
	s_and_saveexec_b64 vcc, s[24:25]
	s_xor_b64 s[30:31], exec, vcc
	s_cbranch_execz .LBB4_950
.LBB4_868:                              ;   in Loop: Header=BB4_79 Depth=1
	s_trap 2
	ds_read_b32 v2, v0
	v_sub_u32_e32 v10, v30, v16
	v_min_i32_e32 v10, v58, v10
	v_cmp_lt_i32_e32 vcc, 0, v10
	s_waitcnt lgkmcnt(0)
	v_readfirstlane_b32 s60, v2
	s_cmp_eq_u32 s60, 0
	s_cselect_b64 s[60:61], -1, 0
	v_and_b32_e32 v2, 16, v62
	s_and_b64 s[60:61], vcc, s[60:61]
	v_cmp_ne_u32_e32 vcc, 0, v2
	s_and_b64 s[60:61], vcc, s[60:61]
	s_and_saveexec_b64 vcc, s[60:61]
	s_cbranch_execz .LBB4_870
; %bb.869:                              ;   in Loop: Header=BB4_79 Depth=1
	buffer_wbl2 sc1
	s_waitcnt vmcnt(0)
	buffer_inv sc1
.LBB4_870:                              ;   in Loop: Header=BB4_79 Depth=1
	s_or_b64 exec, exec, vcc
	s_andn2_saveexec_b64 s[30:31], s[30:31]
	s_cbranch_execz .LBB4_994
	s_branch .LBB4_951
.LBB4_871:                              ;   in Loop: Header=BB4_79 Depth=1
	s_or_b64 exec, exec, s[62:63]
	v_and_b32_e32 v2, 4, v62
.LBB4_872:                              ;   in Loop: Header=BB4_79 Depth=1
	s_or_b64 exec, exec, s[60:61]
	v_cmp_eq_u32_e32 vcc, 0, v2
	s_orn2_b64 s[60:61], vcc, exec
	;;#ASMSTART
	s_wakeup
	;;#ASMEND
	s_or_b64 exec, exec, s[30:31]
	s_xor_b64 vcc, s[60:61], -1
	s_and_saveexec_b64 s[60:61], vcc
	s_cbranch_execnz .LBB4_858
.LBB4_873:                              ;   in Loop: Header=BB4_79 Depth=1
	s_or_b64 exec, exec, s[60:61]
	s_and_saveexec_b64 s[30:31], s[10:11]
	s_cbranch_execz .LBB4_867
.LBB4_874:                              ;   in Loop: Header=BB4_79 Depth=1
	s_and_saveexec_b64 vcc, s[46:47]
	s_xor_b64 s[60:61], exec, vcc
	s_cbranch_execz .LBB4_947
; %bb.875:                              ;   in Loop: Header=BB4_79 Depth=1
	s_and_saveexec_b64 s[62:63], s[16:17]
	s_cbranch_execz .LBB4_946
; %bb.876:                              ;   in Loop: Header=BB4_79 Depth=1
	s_mov_b64 s[66:67], exec
	v_mbcnt_lo_u32_b32 v2, s66, 0
	v_mbcnt_hi_u32_b32 v2, s67, v2
	v_cmp_eq_u32_e32 vcc, 0, v2
	s_waitcnt lgkmcnt(0)
	s_and_saveexec_b64 s[64:65], vcc
	s_cbranch_execz .LBB4_878
; %bb.877:                              ;   in Loop: Header=BB4_79 Depth=1
	s_bcnt1_i32_b64 vcc_lo, s[66:67]
	v_mov_b32_e32 v2, vcc_lo
	ds_add_u64 v0, v[2:3]
	s_trap 2
.LBB4_878:                              ;   in Loop: Header=BB4_79 Depth=1
	s_or_b64 exec, exec, s[64:65]
	s_trap 2
	ds_read_b64 v[10:11], v0
	v_lshl_add_u64 v[28:29], v[28:29], 0, v[34:35]
	s_waitcnt lgkmcnt(0)
	v_cmp_lt_u64_e32 vcc, v[10:11], v[28:29]
	s_and_saveexec_b64 s[64:65], vcc
	s_cbranch_execz .LBB4_945
; %bb.879:                              ;   in Loop: Header=BB4_79 Depth=1
	s_mov_b32 s76, 0
	s_mov_b64 s[66:67], 0
                                        ; implicit-def: $sgpr68_sgpr69
                                        ; implicit-def: $sgpr70_sgpr71
	s_branch .LBB4_881
.LBB4_880:                              ;   in Loop: Header=BB4_881 Depth=2
	s_or_b64 exec, exec, s[74:75]
	s_and_b64 vcc, exec, vcc
	s_or_b64 s[66:67], vcc, s[66:67]
	s_andn2_b64 vcc, s[68:69], exec
	s_and_b64 s[68:69], s[70:71], exec
	s_or_b64 s[68:69], vcc, s[68:69]
	s_andn2_b64 exec, exec, s[66:67]
	s_cbranch_execz .LBB4_943
.LBB4_881:                              ;   Parent Loop BB4_79 Depth=1
                                        ; =>  This Inner Loop Header: Depth=2
	s_add_i32 s76, s76, 1
	s_cmpk_lg_i32 s76, 0x2710
	s_cselect_b64 s[72:73], -1, 0
	s_and_b64 vcc, exec, s[72:73]
                                        ; implicit-def: $sgpr74_sgpr75
	s_cbranch_vccnz .LBB4_883
; %bb.882:                              ;   in Loop: Header=BB4_881 Depth=2
	s_trap 2
	ds_read_b64 v[10:11], v0
	s_andn2_b64 s[72:73], s[72:73], exec
	s_mov_b32 s76, 0
	s_mov_b64 s[74:75], -1
	s_waitcnt vmcnt(0) lgkmcnt(0)
	flat_load_dword v2, v[10:11] sc0 sc1
	s_waitcnt vmcnt(0) lgkmcnt(0)
	buffer_inv sc0 sc1
	v_cmp_eq_u32_e32 vcc, 0, v2
	s_and_b64 vcc, vcc, exec
	s_or_b64 s[72:73], s[72:73], vcc
.LBB4_883:                              ;   in Loop: Header=BB4_881 Depth=2
	s_andn2_b64 s[70:71], s[70:71], exec
	s_and_b64 s[74:75], s[74:75], exec
	s_mov_b64 vcc, -1
	s_or_b64 s[70:71], s[70:71], s[74:75]
	s_and_saveexec_b64 s[74:75], s[72:73]
	s_cbranch_execz .LBB4_880
; %bb.884:                              ;   in Loop: Header=BB4_881 Depth=2
	s_sleep 1
	s_trap 2
	ds_read_b64 v[10:11], v0
	s_andn2_b64 s[70:71], s[70:71], exec
	s_waitcnt lgkmcnt(0)
	v_cmp_ge_u64_e32 vcc, v[10:11], v[28:29]
	s_orn2_b64 vcc, vcc, exec
	s_branch .LBB4_880
.LBB4_885:                              ;   in Loop: Header=BB4_79 Depth=1
	s_or_b64 exec, exec, s[68:69]
	s_and_saveexec_b64 vcc, s[70:71]
	s_xor_b64 vcc, exec, vcc
	s_cbranch_execz .LBB4_887
; %bb.886:                              ;   in Loop: Header=BB4_79 Depth=1
	ds_write_b32 v0, v61
	s_trap 2
.LBB4_887:                              ;   in Loop: Header=BB4_79 Depth=1
	s_or_b64 exec, exec, s[66:67]
	;;#ASMSTART
	s_wakeup
	;;#ASMEND
.LBB4_888:                              ;   in Loop: Header=BB4_79 Depth=1
	s_or_b64 exec, exec, s[64:65]
.LBB4_889:                              ;   in Loop: Header=BB4_79 Depth=1
	s_andn2_saveexec_b64 vcc, s[62:63]
	s_cbranch_execz .LBB4_891
; %bb.890:                              ;   in Loop: Header=BB4_79 Depth=1
	;;#ASMSTART
	s_waitcnt lgkmcnt(0) vmcnt(0)
	;;#ASMEND
	s_barrier
.LBB4_891:                              ;   in Loop: Header=BB4_79 Depth=1
	s_or_b64 exec, exec, vcc
	v_and_b32_e32 v2, 16, v62
	s_or_b64 exec, exec, s[28:29]
	v_cmp_ne_u32_e32 vcc, 0, v2
	s_and_saveexec_b64 s[28:29], vcc
	s_cbranch_execz .LBB4_895
.LBB4_892:                              ;   in Loop: Header=BB4_79 Depth=1
	s_and_saveexec_b64 vcc, s[14:15]
	s_cbranch_execz .LBB4_894
; %bb.893:                              ;   in Loop: Header=BB4_79 Depth=1
	flat_store_dword v[54:55], v61 sc0 sc1
.LBB4_894:                              ;   in Loop: Header=BB4_79 Depth=1
	s_or_b64 exec, exec, vcc
	v_lshl_add_u64 v[8:9], v[8:9], 0, 1
	flat_store_dwordx2 v[20:21], v[8:9] sc0 sc1
.LBB4_895:                              ;   in Loop: Header=BB4_79 Depth=1
	s_or_b64 exec, exec, s[28:29]
	v_mov_b32_e32 v2, v58
.LBB4_896:                              ;   in Loop: Header=BB4_79 Depth=1
	s_or_b64 exec, exec, s[60:61]
	s_mov_b64 vcc, s[34:35]
	s_mov_b64 s[60:61], s[30:31]
	s_and_saveexec_b64 s[28:29], s[26:27]
	s_cbranch_execz .LBB4_983
; %bb.897:                              ;   in Loop: Header=BB4_79 Depth=1
	v_and_b32_e32 v10, 8, v62
	v_cmp_ne_u32_e32 vcc, 0, v10
	s_mov_b64 s[60:61], -1
	s_and_saveexec_b64 s[26:27], vcc
	s_cbranch_execz .LBB4_909
; %bb.898:                              ;   in Loop: Header=BB4_79 Depth=1
	v_lshl_add_u64 v[12:13], v[32:33], 0, 8
	v_lshl_add_u64 v[10:11], v[8:9], 0, 1
	v_cmp_lt_u64_e32 vcc, v[12:13], v[10:11]
	v_mov_b32_e32 v12, 1
	s_and_saveexec_b64 s[60:61], vcc
	s_cbranch_execz .LBB4_908
; %bb.899:                              ;   in Loop: Header=BB4_79 Depth=1
	s_mov_b64 s[62:63], 0
	v_mov_b32_e32 v12, 0
                                        ; implicit-def: $sgpr64_sgpr65
	s_branch .LBB4_903
.LBB4_900:                              ;   in Loop: Header=BB4_903 Depth=2
	s_or_b64 exec, exec, s[72:73]
	v_mov_b32_e32 v13, 0
	s_orn2_b64 s[70:71], s[70:71], exec
.LBB4_901:                              ;   in Loop: Header=BB4_903 Depth=2
	s_or_b64 exec, exec, s[68:69]
	s_andn2_b64 vcc, s[64:65], exec
	s_and_b64 s[64:65], s[70:71], exec
	s_or_b64 s[64:65], vcc, s[64:65]
	v_mov_b32_e32 v12, v13
.LBB4_902:                              ;   in Loop: Header=BB4_903 Depth=2
	s_or_b64 exec, exec, s[66:67]
	s_waitcnt vmcnt(0) lgkmcnt(0)
	v_lshl_add_u64 v[16:17], v[32:33], 0, 8
	v_cmp_ge_u64_e32 vcc, v[16:17], v[10:11]
	s_xor_b64 s[66:67], s[64:65], -1
	s_or_b64 vcc, s[66:67], vcc
	s_and_b64 vcc, exec, vcc
	s_or_b64 s[62:63], vcc, s[62:63]
	s_andn2_b64 exec, exec, s[62:63]
	s_cbranch_execz .LBB4_907
.LBB4_903:                              ;   Parent Loop BB4_79 Depth=1
                                        ; =>  This Inner Loop Header: Depth=2
	s_sleep 1
	flat_load_dwordx2 v[32:33], v[20:21] sc0 sc1
	v_and_b32_e32 v13, 64, v62
	v_cmp_eq_u32_e32 vcc, 0, v13
	s_andn2_b64 s[64:65], s[64:65], exec
	s_and_saveexec_b64 s[66:67], vcc
	s_cbranch_execz .LBB4_902
; %bb.904:                              ;   in Loop: Header=BB4_903 Depth=2
	v_add_u32_e32 v13, 1, v12
	v_cmp_lt_i32_e32 vcc, s81, v12
	s_mov_b64 s[70:71], -1
	s_and_saveexec_b64 s[68:69], vcc
	s_cbranch_execz .LBB4_901
; %bb.905:                              ;   in Loop: Header=BB4_903 Depth=2
	s_trap 2
	ds_read_b64 v[12:13], v0
	s_waitcnt vmcnt(0) lgkmcnt(0)
	flat_load_dword v12, v[12:13] sc0 sc1
	s_waitcnt vmcnt(0) lgkmcnt(0)
	buffer_inv sc0 sc1
	v_cmp_ne_u32_e32 vcc, 0, v12
	s_and_saveexec_b64 s[72:73], vcc
	s_cbranch_execz .LBB4_900
; %bb.906:                              ;   in Loop: Header=BB4_903 Depth=2
	v_or_b32_e32 v62, 64, v62
	s_xor_b64 s[70:71], exec, -1
	ds_write_b32 v0, v12
	s_trap 2
	s_branch .LBB4_900
.LBB4_907:                              ;   in Loop: Header=BB4_79 Depth=1
	s_or_b64 exec, exec, s[62:63]
	v_and_b32_e32 v12, 8, v62
.LBB4_908:                              ;   in Loop: Header=BB4_79 Depth=1
	s_or_b64 exec, exec, s[60:61]
	v_cmp_eq_u32_e32 vcc, 0, v12
	s_orn2_b64 s[60:61], vcc, exec
	;;#ASMSTART
	s_wakeup
	;;#ASMEND
.LBB4_909:                              ;   in Loop: Header=BB4_79 Depth=1
	s_or_b64 exec, exec, s[26:27]
	v_sub_u32_e32 v2, v30, v2
	s_xor_b64 s[26:27], s[60:61], -1
	v_min_i32_e32 v10, v58, v2
	s_and_saveexec_b64 s[60:61], s[26:27]
	s_cbranch_execz .LBB4_931
; %bb.910:                              ;   in Loop: Header=BB4_79 Depth=1
	v_and_b32_e32 v2, 0x100, v62
	v_cmp_ne_u32_e32 vcc, 0, v2
	v_and_b32_e32 v2, 7, v8
	s_mov_b64 s[26:27], -1
                                        ; implicit-def: $vgpr12_vgpr13
	s_and_saveexec_b64 s[62:63], vcc
	s_cbranch_execz .LBB4_914
; %bb.911:                              ;   in Loop: Header=BB4_79 Depth=1
	v_mad_u64_u32 v[16:17], s[26:27], v2, 24, v[6:7]
	flat_load_dword v12, v[16:17]
	v_ashrrev_i32_e32 v11, 31, v10
	flat_store_dwordx2 v[16:17], v[10:11] offset:8
	s_waitcnt vmcnt(0) lgkmcnt(0)
	v_cmp_ne_u32_e32 vcc, 1, v12
	v_cmp_eq_u32_e64 s[26:27], 1, v12
                                        ; implicit-def: $vgpr12_vgpr13
	s_and_saveexec_b64 s[64:65], s[26:27]
	s_cbranch_execz .LBB4_913
; %bb.912:                              ;   in Loop: Header=BB4_79 Depth=1
	flat_load_dword v12, v[16:17] offset:4 sc0 sc1
	s_waitcnt vmcnt(0) lgkmcnt(0)
	v_ashrrev_i32_e32 v13, 31, v12
.LBB4_913:                              ;   in Loop: Header=BB4_79 Depth=1
	s_or_b64 exec, exec, s[64:65]
	s_orn2_b64 s[26:27], vcc, exec
.LBB4_914:                              ;   in Loop: Header=BB4_79 Depth=1
	s_or_b64 exec, exec, s[62:63]
	s_and_saveexec_b64 vcc, s[26:27]
; %bb.915:                              ;   in Loop: Header=BB4_79 Depth=1
	v_mad_i64_i32 v[12:13], s[26:27], v2, v60, 0
; %bb.916:                              ;   in Loop: Header=BB4_79 Depth=1
	s_or_b64 exec, exec, vcc
	v_and_b32_e32 v2, 0x2000, v62
	v_lshl_add_u64 v[12:13], v[18:19], 0, v[12:13]
	v_cmp_ne_u32_e32 vcc, 0, v2
	ds_write_b64 v0, v[12:13] offset:784
	s_and_saveexec_b64 s[26:27], vcc
	s_cbranch_execz .LBB4_918
; %bb.917:                              ;   in Loop: Header=BB4_79 Depth=1
	ds_read_b64 v[12:13], v0 offset:584
	s_waitcnt lgkmcnt(0)
	v_lshl_add_u64 v[12:13], v[12:13], 0, 1
	ds_write_b64 v0, v[12:13] offset:584
.LBB4_918:                              ;   in Loop: Header=BB4_79 Depth=1
	s_or_b64 exec, exec, s[26:27]
	v_lshl_add_u64 v[8:9], v[8:9], 0, 1
	s_or_b64 exec, exec, s[60:61]
	s_and_saveexec_b64 s[26:27], s[10:11]
	s_cbranch_execnz .LBB4_932
.LBB4_919:                              ;   in Loop: Header=BB4_79 Depth=1
	s_or_b64 exec, exec, s[26:27]
                                        ; implicit-def: $vgpr2
	s_and_saveexec_b64 s[26:27], s[54:55]
	s_xor_b64 s[26:27], exec, s[26:27]
	s_cbranch_execz .LBB4_976
.LBB4_920:                              ;   in Loop: Header=BB4_79 Depth=1
	s_and_saveexec_b64 vcc, s[46:47]
	s_xor_b64 s[60:61], exec, vcc
	s_cbranch_execz .LBB4_966
; %bb.921:                              ;   in Loop: Header=BB4_79 Depth=1
	s_and_saveexec_b64 s[62:63], s[16:17]
	s_cbranch_execz .LBB4_965
; %bb.922:                              ;   in Loop: Header=BB4_79 Depth=1
	s_mov_b64 s[66:67], exec
	v_mbcnt_lo_u32_b32 v2, s66, 0
	v_mbcnt_hi_u32_b32 v2, s67, v2
	v_cmp_eq_u32_e32 vcc, 0, v2
	;;#ASMSTART
	s_waitcnt lgkmcnt(0) vmcnt(0)
	;;#ASMEND
	s_and_saveexec_b64 s[64:65], vcc
	s_cbranch_execz .LBB4_924
; %bb.923:                              ;   in Loop: Header=BB4_79 Depth=1
	s_bcnt1_i32_b64 vcc_lo, s[66:67]
	v_mov_b32_e32 v2, vcc_lo
	ds_add_u64 v0, v[2:3]
	s_trap 2
.LBB4_924:                              ;   in Loop: Header=BB4_79 Depth=1
	s_or_b64 exec, exec, s[64:65]
	s_trap 2
	ds_read_b64 v[10:11], v0
	v_lshl_add_u64 v[28:29], v[28:29], 0, v[34:35]
	s_waitcnt lgkmcnt(0)
	v_cmp_lt_u64_e32 vcc, v[10:11], v[28:29]
	s_and_saveexec_b64 s[64:65], vcc
	s_cbranch_execz .LBB4_964
; %bb.925:                              ;   in Loop: Header=BB4_79 Depth=1
	s_mov_b32 s76, 0
	s_mov_b64 s[66:67], 0
                                        ; implicit-def: $sgpr68_sgpr69
                                        ; implicit-def: $sgpr70_sgpr71
	s_branch .LBB4_927
.LBB4_926:                              ;   in Loop: Header=BB4_927 Depth=2
	s_or_b64 exec, exec, s[74:75]
	s_and_b64 vcc, exec, vcc
	s_or_b64 s[66:67], vcc, s[66:67]
	s_andn2_b64 vcc, s[68:69], exec
	s_and_b64 s[68:69], s[70:71], exec
	s_or_b64 s[68:69], vcc, s[68:69]
	s_andn2_b64 exec, exec, s[66:67]
	s_cbranch_execz .LBB4_962
.LBB4_927:                              ;   Parent Loop BB4_79 Depth=1
                                        ; =>  This Inner Loop Header: Depth=2
	s_add_i32 s76, s76, 1
	s_cmpk_lg_i32 s76, 0x2710
	s_cselect_b64 s[72:73], -1, 0
	s_and_b64 vcc, exec, s[72:73]
                                        ; implicit-def: $sgpr74_sgpr75
	s_cbranch_vccnz .LBB4_929
; %bb.928:                              ;   in Loop: Header=BB4_927 Depth=2
	s_trap 2
	ds_read_b64 v[10:11], v0
	s_andn2_b64 s[72:73], s[72:73], exec
	s_mov_b32 s76, 0
	s_mov_b64 s[74:75], -1
	s_waitcnt vmcnt(0) lgkmcnt(0)
	flat_load_dword v2, v[10:11] sc0 sc1
	s_waitcnt vmcnt(0) lgkmcnt(0)
	buffer_inv sc0 sc1
	v_cmp_eq_u32_e32 vcc, 0, v2
	s_and_b64 vcc, vcc, exec
	s_or_b64 s[72:73], s[72:73], vcc
.LBB4_929:                              ;   in Loop: Header=BB4_927 Depth=2
	s_andn2_b64 s[70:71], s[70:71], exec
	s_and_b64 s[74:75], s[74:75], exec
	s_mov_b64 vcc, -1
	s_or_b64 s[70:71], s[70:71], s[74:75]
	s_and_saveexec_b64 s[74:75], s[72:73]
	s_cbranch_execz .LBB4_926
; %bb.930:                              ;   in Loop: Header=BB4_927 Depth=2
	s_sleep 1
	s_trap 2
	ds_read_b64 v[10:11], v0
	s_andn2_b64 s[70:71], s[70:71], exec
	s_waitcnt lgkmcnt(0)
	v_cmp_ge_u64_e32 vcc, v[10:11], v[28:29]
	s_orn2_b64 vcc, vcc, exec
	s_branch .LBB4_926
.LBB4_931:                              ;   in Loop: Header=BB4_79 Depth=1
	s_or_b64 exec, exec, s[60:61]
	s_and_saveexec_b64 s[26:27], s[10:11]
	s_cbranch_execz .LBB4_919
.LBB4_932:                              ;   in Loop: Header=BB4_79 Depth=1
	s_and_saveexec_b64 vcc, s[46:47]
	s_xor_b64 s[60:61], exec, vcc
	s_cbranch_execz .LBB4_973
; %bb.933:                              ;   in Loop: Header=BB4_79 Depth=1
	s_and_saveexec_b64 s[62:63], s[16:17]
	s_cbranch_execz .LBB4_972
; %bb.934:                              ;   in Loop: Header=BB4_79 Depth=1
	s_mov_b64 s[66:67], exec
	v_mbcnt_lo_u32_b32 v2, s66, 0
	v_mbcnt_hi_u32_b32 v2, s67, v2
	v_cmp_eq_u32_e32 vcc, 0, v2
	s_waitcnt lgkmcnt(0)
	s_and_saveexec_b64 s[64:65], vcc
	s_cbranch_execz .LBB4_936
; %bb.935:                              ;   in Loop: Header=BB4_79 Depth=1
	s_bcnt1_i32_b64 vcc_lo, s[66:67]
	v_mov_b32_e32 v2, vcc_lo
	ds_add_u64 v0, v[2:3]
	s_trap 2
.LBB4_936:                              ;   in Loop: Header=BB4_79 Depth=1
	s_or_b64 exec, exec, s[64:65]
	s_trap 2
	ds_read_b64 v[12:13], v0
	v_lshl_add_u64 v[28:29], v[28:29], 0, v[34:35]
	s_waitcnt lgkmcnt(0)
	v_cmp_lt_u64_e32 vcc, v[12:13], v[28:29]
	s_and_saveexec_b64 s[64:65], vcc
	s_cbranch_execz .LBB4_971
; %bb.937:                              ;   in Loop: Header=BB4_79 Depth=1
	s_mov_b32 s76, 0
	s_mov_b64 s[66:67], 0
                                        ; implicit-def: $sgpr68_sgpr69
                                        ; implicit-def: $sgpr70_sgpr71
	s_branch .LBB4_939
.LBB4_938:                              ;   in Loop: Header=BB4_939 Depth=2
	s_or_b64 exec, exec, s[74:75]
	s_and_b64 vcc, exec, vcc
	s_or_b64 s[66:67], vcc, s[66:67]
	s_andn2_b64 vcc, s[68:69], exec
	s_and_b64 s[68:69], s[70:71], exec
	s_or_b64 s[68:69], vcc, s[68:69]
	s_andn2_b64 exec, exec, s[66:67]
	s_cbranch_execz .LBB4_969
.LBB4_939:                              ;   Parent Loop BB4_79 Depth=1
                                        ; =>  This Inner Loop Header: Depth=2
	s_add_i32 s76, s76, 1
	s_cmpk_lg_i32 s76, 0x2710
	s_cselect_b64 s[72:73], -1, 0
	s_and_b64 vcc, exec, s[72:73]
                                        ; implicit-def: $sgpr74_sgpr75
	s_cbranch_vccnz .LBB4_941
; %bb.940:                              ;   in Loop: Header=BB4_939 Depth=2
	s_trap 2
	ds_read_b64 v[12:13], v0
	s_andn2_b64 s[72:73], s[72:73], exec
	s_mov_b32 s76, 0
	s_mov_b64 s[74:75], -1
	s_waitcnt vmcnt(0) lgkmcnt(0)
	flat_load_dword v2, v[12:13] sc0 sc1
	s_waitcnt vmcnt(0) lgkmcnt(0)
	buffer_inv sc0 sc1
	v_cmp_eq_u32_e32 vcc, 0, v2
	s_and_b64 vcc, vcc, exec
	s_or_b64 s[72:73], s[72:73], vcc
.LBB4_941:                              ;   in Loop: Header=BB4_939 Depth=2
	s_andn2_b64 s[70:71], s[70:71], exec
	s_and_b64 s[74:75], s[74:75], exec
	s_mov_b64 vcc, -1
	s_or_b64 s[70:71], s[70:71], s[74:75]
	s_and_saveexec_b64 s[74:75], s[72:73]
	s_cbranch_execz .LBB4_938
; %bb.942:                              ;   in Loop: Header=BB4_939 Depth=2
	s_sleep 1
	s_trap 2
	ds_read_b64 v[12:13], v0
	s_andn2_b64 s[70:71], s[70:71], exec
	s_waitcnt lgkmcnt(0)
	v_cmp_ge_u64_e32 vcc, v[12:13], v[28:29]
	s_orn2_b64 vcc, vcc, exec
	s_branch .LBB4_938
.LBB4_943:                              ;   in Loop: Header=BB4_79 Depth=1
	s_or_b64 exec, exec, s[66:67]
	s_and_saveexec_b64 vcc, s[68:69]
	s_xor_b64 vcc, exec, vcc
	s_cbranch_execz .LBB4_945
; %bb.944:                              ;   in Loop: Header=BB4_79 Depth=1
	ds_write_b32 v0, v61
	s_trap 2
.LBB4_945:                              ;   in Loop: Header=BB4_79 Depth=1
	s_or_b64 exec, exec, s[64:65]
	;;#ASMSTART
	s_wakeup
	;;#ASMEND
.LBB4_946:                              ;   in Loop: Header=BB4_79 Depth=1
	s_or_b64 exec, exec, s[62:63]
.LBB4_947:                              ;   in Loop: Header=BB4_79 Depth=1
	s_andn2_saveexec_b64 vcc, s[60:61]
	s_cbranch_execz .LBB4_949
; %bb.948:                              ;   in Loop: Header=BB4_79 Depth=1
	s_waitcnt lgkmcnt(0)
	s_barrier
.LBB4_949:                              ;   in Loop: Header=BB4_79 Depth=1
	s_or_b64 exec, exec, vcc
	s_or_b64 exec, exec, s[30:31]
	s_and_saveexec_b64 vcc, s[24:25]
	s_xor_b64 s[30:31], exec, vcc
	s_cbranch_execnz .LBB4_868
.LBB4_950:                              ;   in Loop: Header=BB4_79 Depth=1
	s_andn2_saveexec_b64 s[30:31], s[30:31]
	s_cbranch_execz .LBB4_994
.LBB4_951:                              ;   in Loop: Header=BB4_79 Depth=1
	s_and_saveexec_b64 vcc, s[46:47]
	s_xor_b64 s[60:61], exec, vcc
	s_cbranch_execz .LBB4_991
; %bb.952:                              ;   in Loop: Header=BB4_79 Depth=1
	s_and_saveexec_b64 s[62:63], s[16:17]
	s_cbranch_execz .LBB4_990
; %bb.953:                              ;   in Loop: Header=BB4_79 Depth=1
	s_mov_b64 s[66:67], exec
	v_mbcnt_lo_u32_b32 v2, s66, 0
	v_mbcnt_hi_u32_b32 v2, s67, v2
	v_cmp_eq_u32_e32 vcc, 0, v2
	;;#ASMSTART
	s_waitcnt lgkmcnt(0) vmcnt(0)
	;;#ASMEND
	s_and_saveexec_b64 s[64:65], vcc
	s_cbranch_execz .LBB4_955
; %bb.954:                              ;   in Loop: Header=BB4_79 Depth=1
	s_bcnt1_i32_b64 vcc_lo, s[66:67]
	v_mov_b32_e32 v2, vcc_lo
	ds_add_u64 v0, v[2:3]
	s_trap 2
.LBB4_955:                              ;   in Loop: Header=BB4_79 Depth=1
	s_or_b64 exec, exec, s[64:65]
	s_trap 2
	ds_read_b64 v[10:11], v0
	v_lshl_add_u64 v[28:29], v[28:29], 0, v[34:35]
	s_waitcnt lgkmcnt(0)
	v_cmp_lt_u64_e32 vcc, v[10:11], v[28:29]
	s_and_saveexec_b64 s[64:65], vcc
	s_cbranch_execz .LBB4_989
; %bb.956:                              ;   in Loop: Header=BB4_79 Depth=1
	s_mov_b32 s76, 0
	s_mov_b64 s[66:67], 0
                                        ; implicit-def: $sgpr68_sgpr69
                                        ; implicit-def: $sgpr70_sgpr71
	s_branch .LBB4_958
.LBB4_957:                              ;   in Loop: Header=BB4_958 Depth=2
	s_or_b64 exec, exec, s[74:75]
	s_and_b64 vcc, exec, vcc
	s_or_b64 s[66:67], vcc, s[66:67]
	s_andn2_b64 vcc, s[68:69], exec
	s_and_b64 s[68:69], s[70:71], exec
	s_or_b64 s[68:69], vcc, s[68:69]
	s_andn2_b64 exec, exec, s[66:67]
	s_cbranch_execz .LBB4_987
.LBB4_958:                              ;   Parent Loop BB4_79 Depth=1
                                        ; =>  This Inner Loop Header: Depth=2
	s_add_i32 s76, s76, 1
	s_cmpk_lg_i32 s76, 0x2710
	s_cselect_b64 s[72:73], -1, 0
	s_and_b64 vcc, exec, s[72:73]
                                        ; implicit-def: $sgpr74_sgpr75
	s_cbranch_vccnz .LBB4_960
; %bb.959:                              ;   in Loop: Header=BB4_958 Depth=2
	s_trap 2
	ds_read_b64 v[10:11], v0
	s_andn2_b64 s[72:73], s[72:73], exec
	s_mov_b32 s76, 0
	s_mov_b64 s[74:75], -1
	s_waitcnt vmcnt(0) lgkmcnt(0)
	flat_load_dword v2, v[10:11] sc0 sc1
	s_waitcnt vmcnt(0) lgkmcnt(0)
	buffer_inv sc0 sc1
	v_cmp_eq_u32_e32 vcc, 0, v2
	s_and_b64 vcc, vcc, exec
	s_or_b64 s[72:73], s[72:73], vcc
.LBB4_960:                              ;   in Loop: Header=BB4_958 Depth=2
	s_andn2_b64 s[70:71], s[70:71], exec
	s_and_b64 s[74:75], s[74:75], exec
	s_mov_b64 vcc, -1
	s_or_b64 s[70:71], s[70:71], s[74:75]
	s_and_saveexec_b64 s[74:75], s[72:73]
	s_cbranch_execz .LBB4_957
; %bb.961:                              ;   in Loop: Header=BB4_958 Depth=2
	s_sleep 1
	s_trap 2
	ds_read_b64 v[10:11], v0
	s_andn2_b64 s[70:71], s[70:71], exec
	s_waitcnt lgkmcnt(0)
	v_cmp_ge_u64_e32 vcc, v[10:11], v[28:29]
	s_orn2_b64 vcc, vcc, exec
	s_branch .LBB4_957
.LBB4_962:                              ;   in Loop: Header=BB4_79 Depth=1
	s_or_b64 exec, exec, s[66:67]
	s_and_saveexec_b64 vcc, s[68:69]
	s_xor_b64 vcc, exec, vcc
	s_cbranch_execz .LBB4_964
; %bb.963:                              ;   in Loop: Header=BB4_79 Depth=1
	ds_write_b32 v0, v61
	s_trap 2
.LBB4_964:                              ;   in Loop: Header=BB4_79 Depth=1
	s_or_b64 exec, exec, s[64:65]
	;;#ASMSTART
	s_wakeup
	;;#ASMEND
.LBB4_965:                              ;   in Loop: Header=BB4_79 Depth=1
	s_or_b64 exec, exec, s[62:63]
.LBB4_966:                              ;   in Loop: Header=BB4_79 Depth=1
	s_andn2_saveexec_b64 vcc, s[60:61]
	s_cbranch_execz .LBB4_968
; %bb.967:                              ;   in Loop: Header=BB4_79 Depth=1
	;;#ASMSTART
	s_waitcnt lgkmcnt(0) vmcnt(0)
	;;#ASMEND
	s_barrier
.LBB4_968:                              ;   in Loop: Header=BB4_79 Depth=1
	s_or_b64 exec, exec, vcc
	v_and_b32_e32 v2, 16, v62
                                        ; implicit-def: $vgpr10
	s_andn2_saveexec_b64 s[26:27], s[26:27]
	s_cbranch_execz .LBB4_980
	s_branch .LBB4_977
.LBB4_969:                              ;   in Loop: Header=BB4_79 Depth=1
	s_or_b64 exec, exec, s[66:67]
	s_and_saveexec_b64 vcc, s[68:69]
	s_xor_b64 vcc, exec, vcc
	s_cbranch_execz .LBB4_971
; %bb.970:                              ;   in Loop: Header=BB4_79 Depth=1
	ds_write_b32 v0, v61
	s_trap 2
.LBB4_971:                              ;   in Loop: Header=BB4_79 Depth=1
	s_or_b64 exec, exec, s[64:65]
	;;#ASMSTART
	s_wakeup
	;;#ASMEND
.LBB4_972:                              ;   in Loop: Header=BB4_79 Depth=1
	s_or_b64 exec, exec, s[62:63]
.LBB4_973:                              ;   in Loop: Header=BB4_79 Depth=1
	s_andn2_saveexec_b64 vcc, s[60:61]
	s_cbranch_execz .LBB4_975
; %bb.974:                              ;   in Loop: Header=BB4_79 Depth=1
	s_waitcnt lgkmcnt(0)
	s_barrier
.LBB4_975:                              ;   in Loop: Header=BB4_79 Depth=1
	s_or_b64 exec, exec, vcc
	s_or_b64 exec, exec, s[26:27]
                                        ; implicit-def: $vgpr2
	s_and_saveexec_b64 s[26:27], s[54:55]
	s_xor_b64 s[26:27], exec, s[26:27]
	s_cbranch_execnz .LBB4_920
.LBB4_976:                              ;   in Loop: Header=BB4_79 Depth=1
	s_andn2_saveexec_b64 s[26:27], s[26:27]
	s_cbranch_execz .LBB4_980
.LBB4_977:                              ;   in Loop: Header=BB4_79 Depth=1
	s_trap 2
	ds_read_b32 v11, v0
	v_cmp_lt_i32_e32 vcc, 0, v10
	v_and_b32_e32 v10, 16, v62
	v_and_b32_e32 v2, 16, v62
	s_waitcnt lgkmcnt(0)
	v_readfirstlane_b32 s60, v11
	s_cmp_eq_u32 s60, 0
	s_cselect_b64 s[60:61], -1, 0
	s_and_b64 s[60:61], vcc, s[60:61]
	v_cmp_ne_u32_e32 vcc, 0, v10
	s_and_b64 s[60:61], vcc, s[60:61]
	s_and_saveexec_b64 vcc, s[60:61]
	s_cbranch_execz .LBB4_979
; %bb.978:                              ;   in Loop: Header=BB4_79 Depth=1
	v_mov_b32_e32 v2, 1
	buffer_wbl2 sc1
	s_waitcnt vmcnt(0)
	buffer_inv sc1
.LBB4_979:                              ;   in Loop: Header=BB4_79 Depth=1
	s_or_b64 exec, exec, vcc
.LBB4_980:                              ;   in Loop: Header=BB4_79 Depth=1
	s_or_b64 exec, exec, s[26:27]
	v_cmp_ne_u32_e32 vcc, 0, v2
	s_mov_b64 s[26:27], s[34:35]
	s_mov_b64 s[60:61], s[30:31]
	s_and_saveexec_b64 s[62:63], vcc
; %bb.981:                              ;   in Loop: Header=BB4_79 Depth=1
	s_andn2_b64 s[26:27], s[30:31], exec
	s_and_b64 vcc, s[12:13], exec
	s_or_b64 s[60:61], s[26:27], vcc
	s_andn2_b64 s[26:27], s[34:35], exec
	s_and_b64 vcc, s[14:15], exec
	s_or_b64 s[26:27], s[26:27], vcc
; %bb.982:                              ;   in Loop: Header=BB4_79 Depth=1
	s_or_b64 exec, exec, s[62:63]
	s_andn2_b64 vcc, s[30:31], exec
	s_and_b64 s[60:61], s[60:61], exec
	s_or_b64 s[60:61], vcc, s[60:61]
	s_andn2_b64 vcc, s[34:35], exec
	s_and_b64 s[26:27], s[26:27], exec
	s_or_b64 vcc, vcc, s[26:27]
.LBB4_983:                              ;   in Loop: Header=BB4_79 Depth=1
	s_or_b64 exec, exec, s[28:29]
	s_andn2_b64 s[26:27], s[30:31], exec
	s_and_b64 s[28:29], s[60:61], exec
	s_or_b64 s[30:31], s[26:27], s[28:29]
	s_andn2_b64 s[26:27], s[34:35], exec
	s_and_b64 s[28:29], vcc, exec
	s_or_b64 s[34:35], s[26:27], s[28:29]
.LBB4_984:                              ;   in Loop: Header=BB4_79 Depth=1
	s_or_b64 exec, exec, s[36:37]
	s_and_saveexec_b64 s[26:27], s[34:35]
	s_cbranch_execz .LBB4_986
; %bb.985:                              ;   in Loop: Header=BB4_79 Depth=1
	s_or_b64 s[30:31], s[30:31], exec
	flat_store_dword v[54:55], v61 sc0 sc1
.LBB4_986:                              ;   in Loop: Header=BB4_79 Depth=1
	s_or_b64 exec, exec, s[26:27]
	s_andn2_b64 s[26:27], s[56:57], exec
	s_and_b64 s[28:29], s[30:31], exec
	s_or_b64 s[56:57], s[26:27], s[28:29]
	s_or_b64 exec, exec, s[58:59]
	s_and_saveexec_b64 s[26:27], s[56:57]
	s_cbranch_execz .LBB4_78
	s_branch .LBB4_998
.LBB4_987:                              ;   in Loop: Header=BB4_79 Depth=1
	s_or_b64 exec, exec, s[66:67]
	s_and_saveexec_b64 vcc, s[68:69]
	s_xor_b64 vcc, exec, vcc
	s_cbranch_execz .LBB4_989
; %bb.988:                              ;   in Loop: Header=BB4_79 Depth=1
	ds_write_b32 v0, v61
	s_trap 2
.LBB4_989:                              ;   in Loop: Header=BB4_79 Depth=1
	s_or_b64 exec, exec, s[64:65]
	;;#ASMSTART
	s_wakeup
	;;#ASMEND
.LBB4_990:                              ;   in Loop: Header=BB4_79 Depth=1
	s_or_b64 exec, exec, s[62:63]
.LBB4_991:                              ;   in Loop: Header=BB4_79 Depth=1
	s_andn2_saveexec_b64 vcc, s[60:61]
	s_cbranch_execz .LBB4_993
; %bb.992:                              ;   in Loop: Header=BB4_79 Depth=1
	;;#ASMSTART
	s_waitcnt lgkmcnt(0) vmcnt(0)
	;;#ASMEND
	s_barrier
.LBB4_993:                              ;   in Loop: Header=BB4_79 Depth=1
	s_or_b64 exec, exec, vcc
.LBB4_994:                              ;   in Loop: Header=BB4_79 Depth=1
	s_or_b64 exec, exec, s[30:31]
	v_and_b32_e32 v2, 32, v62
	v_cmp_ne_u32_e32 vcc, 0, v2
	s_andn2_b64 s[30:31], s[34:35], exec
	s_and_b64 vcc, vcc, exec
	s_or_b64 vcc, s[30:31], vcc
.LBB4_995:                              ;   in Loop: Header=BB4_79 Depth=1
	s_or_b64 exec, exec, s[56:57]
	s_andn2_b64 s[30:31], s[34:35], exec
	s_and_b64 vcc, vcc, exec
	s_or_b64 s[34:35], s[30:31], vcc
.LBB4_996:                              ;   in Loop: Header=BB4_79 Depth=1
	s_or_b64 exec, exec, s[36:37]
	s_and_b64 s[56:57], s[34:35], exec
                                        ; implicit-def: $vgpr58
                                        ; implicit-def: $vgpr30
                                        ; implicit-def: $vgpr10_vgpr11
	s_andn2_saveexec_b64 s[58:59], s[58:59]
	s_cbranch_execnz .LBB4_88
.LBB4_997:                              ;   in Loop: Header=BB4_79 Depth=1
	s_or_b64 exec, exec, s[58:59]
	s_and_saveexec_b64 s[26:27], s[56:57]
	s_cbranch_execz .LBB4_78
.LBB4_998:                              ;   in Loop: Header=BB4_79 Depth=1
	v_lshl_add_u64 v[8:9], v[8:9], 0, 1
	flat_store_dwordx2 v[20:21], v[8:9] sc0 sc1
	s_branch .LBB4_78
.LBB4_999:
	s_or_b64 exec, exec, s[44:45]
	v_accvgpr_read_b32 v51, a5
	v_accvgpr_read_b32 v31, a0
	;; [unrolled: 1-line block ×4, first 2 shown]
.LBB4_1000:
	s_or_b64 exec, exec, s[42:43]
	v_and_b32_e32 v0, 0x800, v62
	v_cmp_eq_u32_e32 vcc, 0, v0
	s_and_saveexec_b64 s[0:1], vcc
	s_cbranch_execz .LBB4_1035
; %bb.1001:
	v_and_b32_e32 v0, 48, v62
	v_cmp_ne_u32_e32 vcc, 0, v0
	s_and_saveexec_b64 s[2:3], vcc
	s_cbranch_execz .LBB4_1003
; %bb.1002:
	s_waitcnt lgkmcnt(0)
	flat_store_dwordx2 v[50:51], v[8:9] offset:104
.LBB4_1003:
	s_or_b64 exec, exec, s[2:3]
	s_movk_i32 s2, 0x88
	v_and_b32_e32 v0, 0x88, v62
	v_cmp_eq_u32_e32 vcc, s2, v0
	s_and_saveexec_b64 s[2:3], vcc
	s_cbranch_execz .LBB4_1015
; %bb.1004:
	s_waitcnt lgkmcnt(0)
	v_add_u32_e32 v0, -1, v8
	v_and_b32_e32 v0, 7, v0
	v_mad_u64_u32 v[0:1], s[4:5], v0, 24, v[6:7]
	v_lshl_add_u64 v[0:1], v[0:1], 0, 8
	s_mov_b64 s[4:5], 0
	v_mov_b32_e32 v2, 0
	s_movk_i32 s20, 0x270e
                                        ; implicit-def: $sgpr6_sgpr7
	s_branch .LBB4_1009
.LBB4_1005:                             ;   in Loop: Header=BB4_1009 Depth=1
	s_or_b64 exec, exec, s[18:19]
	v_mov_b32_e32 v3, 0
	s_orn2_b64 s[16:17], s[16:17], exec
.LBB4_1006:                             ;   in Loop: Header=BB4_1009 Depth=1
	s_or_b64 exec, exec, s[14:15]
	s_and_b64 s[14:15], s[16:17], exec
	v_mov_b32_e32 v2, v3
.LBB4_1007:                             ;   in Loop: Header=BB4_1009 Depth=1
	s_or_b64 exec, exec, s[12:13]
	s_xor_b64 s[12:13], s[14:15], -1
	s_andn2_b64 s[6:7], s[6:7], exec
	s_and_b64 s[12:13], s[12:13], exec
	s_or_b64 s[6:7], s[6:7], s[12:13]
.LBB4_1008:                             ;   in Loop: Header=BB4_1009 Depth=1
	s_or_b64 exec, exec, s[10:11]
	s_and_b64 s[10:11], exec, s[6:7]
	s_or_b64 s[4:5], s[10:11], s[4:5]
	s_andn2_b64 exec, exec, s[4:5]
	s_cbranch_execz .LBB4_1014
.LBB4_1009:                             ; =>This Inner Loop Header: Depth=1
	flat_load_dwordx2 v[4:5], v[0:1] sc0 sc1
	s_waitcnt vmcnt(0)
	s_or_b64 s[6:7], s[6:7], exec
	s_waitcnt lgkmcnt(0)
	v_cmp_ne_u64_e32 vcc, -1, v[4:5]
	s_and_saveexec_b64 s[10:11], vcc
	s_cbranch_execz .LBB4_1008
; %bb.1010:                             ;   in Loop: Header=BB4_1009 Depth=1
	v_and_b32_e32 v3, 64, v62
	v_cmp_eq_u32_e32 vcc, 0, v3
	s_mov_b64 s[14:15], 0
	s_and_saveexec_b64 s[12:13], vcc
	s_cbranch_execz .LBB4_1007
; %bb.1011:                             ;   in Loop: Header=BB4_1009 Depth=1
	v_add_u32_e32 v3, 1, v2
	v_cmp_lt_i32_e32 vcc, s20, v2
	s_mov_b64 s[16:17], -1
	s_and_saveexec_b64 s[14:15], vcc
	s_cbranch_execz .LBB4_1006
; %bb.1012:                             ;   in Loop: Header=BB4_1009 Depth=1
	s_trap 2
	ds_read_b64 v[2:3], v0
	s_waitcnt lgkmcnt(0)
	flat_load_dword v2, v[2:3] sc0 sc1
	s_waitcnt vmcnt(0) lgkmcnt(0)
	buffer_inv sc0 sc1
	v_cmp_ne_u32_e32 vcc, 0, v2
	s_and_saveexec_b64 s[18:19], vcc
	s_cbranch_execz .LBB4_1005
; %bb.1013:                             ;   in Loop: Header=BB4_1009 Depth=1
	v_or_b32_e32 v62, 64, v62
	s_xor_b64 s[16:17], exec, -1
	ds_write_b32 v0, v2
	s_trap 2
	s_branch .LBB4_1005
.LBB4_1014:
	s_or_b64 exec, exec, s[4:5]
.LBB4_1015:
	s_or_b64 exec, exec, s[2:3]
	v_and_b32_e32 v0, 0x2000, v62
	v_cmp_ne_u32_e32 vcc, 0, v0
	s_and_saveexec_b64 s[2:3], vcc
	s_cbranch_execz .LBB4_1017
; %bb.1016:
	s_trap 2
	ds_read_b64 v[0:1], v0
	v_accvgpr_read_b32 v2, a2
	v_accvgpr_read_b32 v3, a3
	s_waitcnt lgkmcnt(0)
	flat_store_dwordx2 v[2:3], v[0:1] offset:16
.LBB4_1017:
	s_or_b64 exec, exec, s[2:3]
	v_cmp_ne_u32_e32 vcc, 64, v23
	s_and_b64 exec, exec, vcc
	s_cbranch_execz .LBB4_1035
; %bb.1018:
	v_cmp_ne_u32_sdwa s[2:3], v23, v48 src0_sel:DWORD src1_sel:WORD_0
	s_and_saveexec_b64 s[4:5], s[2:3]
	s_xor_b64 s[2:3], exec, s[4:5]
	s_cbranch_execz .LBB4_1033
; %bb.1019:
	v_and_b32_e32 v0, 63, v31
	v_cmp_eq_u32_e32 vcc, 0, v0
	s_and_saveexec_b64 s[4:5], vcc
	s_cbranch_execz .LBB4_1032
; %bb.1020:
	s_mov_b64 s[10:11], exec
	v_mbcnt_lo_u32_b32 v0, s10, 0
	v_mbcnt_hi_u32_b32 v0, s11, v0
	v_cmp_eq_u32_e32 vcc, 0, v0
	s_waitcnt lgkmcnt(0)
	s_and_saveexec_b64 s[6:7], vcc
	s_cbranch_execz .LBB4_1022
; %bb.1021:
	s_bcnt1_i32_b64 s10, s[10:11]
	v_mov_b32_e32 v0, s10
	v_mov_b32_e32 v1, 0
	ds_add_u64 v0, v[0:1]
	s_trap 2
.LBB4_1022:
	s_or_b64 exec, exec, s[6:7]
	v_ashrrev_i32_e32 v0, 31, v23
	v_lshrrev_b32_e32 v0, 26, v0
	s_trap 2
	ds_read_b64 v[2:3], v0
	v_add_u32_e32 v0, v23, v0
	v_ashrrev_i32_e32 v0, 6, v0
	v_ashrrev_i32_e32 v1, 31, v0
	v_lshl_add_u64 v[0:1], v[28:29], 0, v[0:1]
	s_waitcnt lgkmcnt(0)
	v_cmp_lt_u64_e32 vcc, v[2:3], v[0:1]
	s_and_saveexec_b64 s[6:7], vcc
	s_cbranch_execz .LBB4_1031
; %bb.1023:
	s_mov_b32 s22, 0
	s_mov_b64 s[10:11], 0
                                        ; implicit-def: $sgpr12_sgpr13
                                        ; implicit-def: $sgpr14_sgpr15
	s_branch .LBB4_1025
.LBB4_1024:                             ;   in Loop: Header=BB4_1025 Depth=1
	s_or_b64 exec, exec, s[20:21]
	s_and_b64 s[16:17], exec, s[18:19]
	s_or_b64 s[10:11], s[16:17], s[10:11]
	s_andn2_b64 s[12:13], s[12:13], exec
	s_and_b64 s[16:17], s[14:15], exec
	s_or_b64 s[12:13], s[12:13], s[16:17]
	s_andn2_b64 exec, exec, s[10:11]
	s_cbranch_execz .LBB4_1029
.LBB4_1025:                             ; =>This Inner Loop Header: Depth=1
	s_add_i32 s22, s22, 1
	s_cmpk_lg_i32 s22, 0x2710
	s_cselect_b64 s[16:17], -1, 0
	s_and_b64 vcc, exec, s[16:17]
                                        ; implicit-def: $sgpr20_sgpr21
	s_cbranch_vccnz .LBB4_1027
; %bb.1026:                             ;   in Loop: Header=BB4_1025 Depth=1
	s_trap 2
	ds_read_b64 v[2:3], v0
	s_andn2_b64 s[16:17], s[16:17], exec
	s_mov_b32 s22, 0
	s_mov_b64 s[20:21], -1
	s_waitcnt vmcnt(0) lgkmcnt(0)
	flat_load_dword v2, v[2:3] sc0 sc1
	s_waitcnt vmcnt(0) lgkmcnt(0)
	buffer_inv sc0 sc1
	v_cmp_eq_u32_e32 vcc, 0, v2
	s_and_b64 s[18:19], vcc, exec
	s_or_b64 s[16:17], s[16:17], s[18:19]
.LBB4_1027:                             ;   in Loop: Header=BB4_1025 Depth=1
	s_andn2_b64 s[14:15], s[14:15], exec
	s_and_b64 s[20:21], s[20:21], exec
	s_mov_b64 s[18:19], -1
	s_or_b64 s[14:15], s[14:15], s[20:21]
	s_and_saveexec_b64 s[20:21], s[16:17]
	s_cbranch_execz .LBB4_1024
; %bb.1028:                             ;   in Loop: Header=BB4_1025 Depth=1
	s_sleep 1
	s_trap 2
	ds_read_b64 v[2:3], v0
	s_andn2_b64 s[14:15], s[14:15], exec
	s_waitcnt lgkmcnt(0)
	v_cmp_ge_u64_e32 vcc, v[2:3], v[0:1]
	s_orn2_b64 s[18:19], vcc, exec
	s_branch .LBB4_1024
.LBB4_1029:
	s_or_b64 exec, exec, s[10:11]
	s_and_saveexec_b64 s[10:11], s[12:13]
	s_xor_b64 s[10:11], exec, s[10:11]
	s_cbranch_execz .LBB4_1031
; %bb.1030:
	v_mov_b32_e32 v0, 1
	ds_write_b32 v0, v0
	s_trap 2
.LBB4_1031:
	s_or_b64 exec, exec, s[6:7]
	;;#ASMSTART
	s_wakeup
	;;#ASMEND
.LBB4_1032:
	s_or_b64 exec, exec, s[4:5]
.LBB4_1033:
	s_andn2_saveexec_b64 s[2:3], s[2:3]
	s_cbranch_execz .LBB4_1035
; %bb.1034:
	s_waitcnt lgkmcnt(0)
	s_barrier
.LBB4_1035:
	s_or_b64 exec, exec, s[0:1]
.LBB4_1036:
	s_andn2_saveexec_b64 s[22:23], s[40:41]
	s_cbranch_execz .LBB4_1038
; %bb.1037:
	s_getpc_b64 s[0:1]
	s_add_u32 s0, s0, __PRETTY_FUNCTION__._ZN10PrimitivesIa7FuncSumIaE12FanSymmetricILi1EELi0E11ProtoSimpleILi1ELi1ELi0ELi1ELi0ELi0EELi0ELb0ELi0ELi0ELi0EEC2EiiPKiS8_PKvPvmhhhP15ncclDevWorkCollP14ncclDevWorkP2pii@rel32@lo+4
	s_addc_u32 s1, s1, __PRETTY_FUNCTION__._ZN10PrimitivesIa7FuncSumIaE12FanSymmetricILi1EELi0E11ProtoSimpleILi1ELi1ELi0ELi1ELi0ELi0EELi0ELb0ELi0ELi0ELi0EEC2EiiPKiS8_PKvPvmhhhP15ncclDevWorkCollP14ncclDevWorkP2pii@rel32@hi+12
	v_mov_b32_e32 v0, s0
	v_mov_b32_e32 v1, s1
	s_getpc_b64 s[2:3]
	s_add_u32 s2, s2, __assert_fail@rel32@lo+4
	s_addc_u32 s3, s3, __assert_fail@rel32@hi+12
	s_swappc_b64 s[30:31], s[2:3]
	; divergent unreachable
.LBB4_1038:
	s_or_b64 exec, exec, s[22:23]
.LBB4_1039:
	s_or_b64 exec, exec, s[38:39]
	scratch_load_dword v62, off, s33        ; 4-byte Folded Reload
	scratch_load_dword v61, off, s33 offset:4 ; 4-byte Folded Reload
	s_waitcnt lgkmcnt(0)
	scratch_load_dword v60, off, s33 offset:8 ; 4-byte Folded Reload
	scratch_load_dword v59, off, s33 offset:12 ; 4-byte Folded Reload
	;; [unrolled: 1-line block ×3, first 2 shown]
	v_readlane_b32 s30, v63, 51
	v_readlane_b32 s31, v63, 52
	;; [unrolled: 1-line block ×53, first 2 shown]
	v_accvgpr_read_b32 v57, a31             ;  Reload Reuse
	v_accvgpr_read_b32 v56, a30             ;  Reload Reuse
	;; [unrolled: 1-line block ×10, first 2 shown]
	v_readlane_b32 s0, v63, 53
	s_or_saveexec_b64 s[2:3], -1
	scratch_load_dword v63, off, s33 offset:20 ; 4-byte Folded Reload
	s_mov_b64 exec, s[2:3]
	s_addk_i32 s32, 0xffe0
	s_mov_b32 s33, s0
	s_waitcnt vmcnt(0)
	s_setpc_b64 s[30:31]
.Lfunc_end4:
	.size	_ZN12_GLOBAL__N_17runRingIa7FuncSumIaE11ProtoSimpleILi1ELi1ELi0ELi1ELi0ELi0EELi0ELi1ELi0EEEviiP15ncclDevWorkColl, .Lfunc_end4-_ZN12_GLOBAL__N_17runRingIa7FuncSumIaE11ProtoSimpleILi1ELi1ELi0ELi1ELi0ELi0EELi0ELi1ELi0EEEviiP15ncclDevWorkColl
                                        ; -- End function
	.section	.AMDGPU.csdata,"",@progbits
; Function info:
; codeLenInByte = 30244
; NumSgprs: 91
; NumVgprs: 64
; NumAgprs: 32
; TotalNumVgprs: 96
; ScratchSize: 96
; MemoryBound: 1
	.text
	.p2align	2                               ; -- Begin function _Z46ncclDevFunc_Broadcast_RING_SIMPLE_Sum_i8_0_0_1v
	.type	_Z46ncclDevFunc_Broadcast_RING_SIMPLE_Sum_i8_0_0_1v,@function
_Z46ncclDevFunc_Broadcast_RING_SIMPLE_Sum_i8_0_0_1v: ; @_Z46ncclDevFunc_Broadcast_RING_SIMPLE_Sum_i8_0_0_1v
; %bb.0:
	s_waitcnt vmcnt(0) expcnt(0) lgkmcnt(0)
	s_mov_b32 s0, s33
	s_mov_b32 s33, s32
	s_or_saveexec_b64 s[2:3], -1
	scratch_store_dword off, v43, s33 offset:16 ; 4-byte Folded Spill
	s_mov_b64 exec, s[2:3]
	v_writelane_b32 v43, s0, 61
	s_add_i32 s32, s32, 32
	scratch_store_dword off, v40, s33 offset:12 ; 4-byte Folded Spill
	scratch_store_dword off, v41, s33 offset:8 ; 4-byte Folded Spill
	;; [unrolled: 1-line block ×3, first 2 shown]
	scratch_store_dword off, v63, s33       ; 4-byte Folded Spill
	v_writelane_b32 v43, s34, 0
	v_writelane_b32 v43, s35, 1
	;; [unrolled: 1-line block ×60, first 2 shown]
	s_nop 1
	v_writelane_b32 v43, s31, 60
	s_trap 2
	ds_read_b32 v0, v0
	v_mov_b32_e32 v40, v31
	s_mov_b32 s85, s12
	s_mov_b64 s[86:87], s[8:9]
	s_waitcnt lgkmcnt(0)
	v_cmp_gt_i32_e32 vcc, 1, v0
	s_cbranch_vccnz .LBB5_8
; %bb.1:
	s_mov_b32 s92, 0
	v_and_b32_e32 v41, 0x3ff, v40
	s_mov_b64 s[88:89], src_shared_base
	v_mov_b32_e32 v42, 6
	s_branch .LBB5_3
.LBB5_2:                                ;   in Loop: Header=BB5_3 Depth=1
	s_or_b64 exec, exec, s[90:91]
	s_trap 2
	ds_read_b32 v0, v0
	s_add_i32 s92, s92, 1
	s_waitcnt lgkmcnt(0)
	v_cmp_lt_i32_e32 vcc, s92, v0
	s_cbranch_vccz .LBB5_8
.LBB5_3:                                ; =>This Inner Loop Header: Depth=1
	s_trap 2
	ds_read_b32 v0, v0
	s_cmp_eq_u32 s92, 0
	s_cbranch_scc1 .LBB5_6
; %bb.4:                                ;   in Loop: Header=BB5_3 Depth=1
	s_trap 2
	s_waitcnt lgkmcnt(0)
	ds_read_b32 v1, v0
	s_waitcnt lgkmcnt(0)
	v_xor_b32_e32 v1, v1, v0
	v_and_b32_e32 v1, 0xff0000, v1
	v_cmp_eq_u32_e32 vcc, 0, v1
	s_cbranch_vccnz .LBB5_6
; %bb.5:                                ;   in Loop: Header=BB5_3 Depth=1
	s_barrier
	ds_read_b32 v0, v0
.LBB5_6:                                ;   in Loop: Header=BB5_3 Depth=1
	s_waitcnt lgkmcnt(0)
	v_lshlrev_b32_sdwa v1, v42, v0 dst_sel:DWORD dst_unused:UNUSED_PAD src0_sel:DWORD src1_sel:BYTE_2
	v_cmp_lt_u32_e32 vcc, v41, v1
	s_and_saveexec_b64 s[90:91], vcc
	s_cbranch_execz .LBB5_2
; %bb.7:                                ;   in Loop: Header=BB5_3 Depth=1
	s_mov_b64 s[8:9], s[86:87]
	s_mov_b32 s12, s85
	v_mov_b32_e32 v31, v40
	v_mov_b32_e32 v0, v41
	;; [unrolled: 1-line block ×3, first 2 shown]
	s_getpc_b64 s[0:1]
	s_add_u32 s0, s0, _ZN12_GLOBAL__N_17runRingIa7FuncSumIaE11ProtoSimpleILi1ELi1ELi0ELi1ELi0ELi0EELi0ELi1ELi0EEEviiP15ncclDevWorkColl@rel32@lo+4
	s_addc_u32 s1, s1, _ZN12_GLOBAL__N_17runRingIa7FuncSumIaE11ProtoSimpleILi1ELi1ELi0ELi1ELi0ELi0EELi0ELi1ELi0EEEviiP15ncclDevWorkColl@rel32@hi+12
	s_swappc_b64 s[30:31], s[0:1]
	s_branch .LBB5_2
.LBB5_8:
	scratch_load_dword v63, off, s33        ; 4-byte Folded Reload
	scratch_load_dword v42, off, s33 offset:4 ; 4-byte Folded Reload
	scratch_load_dword v41, off, s33 offset:8 ; 4-byte Folded Reload
	;; [unrolled: 1-line block ×3, first 2 shown]
	v_readlane_b32 s30, v43, 59
	v_readlane_b32 s31, v43, 60
	;; [unrolled: 1-line block ×62, first 2 shown]
	s_or_saveexec_b64 s[2:3], -1
	scratch_load_dword v43, off, s33 offset:16 ; 4-byte Folded Reload
	s_mov_b64 exec, s[2:3]
	s_addk_i32 s32, 0xffe0
	s_mov_b32 s33, s0
	s_waitcnt vmcnt(0)
	s_setpc_b64 s[30:31]
.Lfunc_end5:
	.size	_Z46ncclDevFunc_Broadcast_RING_SIMPLE_Sum_i8_0_0_1v, .Lfunc_end5-_Z46ncclDevFunc_Broadcast_RING_SIMPLE_Sum_i8_0_0_1v
                                        ; -- End function
	.section	.AMDGPU.csdata,"",@progbits
; Function info:
; codeLenInByte = 1360
; NumSgprs: 99
; NumVgprs: 64
; NumAgprs: 32
; TotalNumVgprs: 96
; ScratchSize: 128
; MemoryBound: 0
	.text
	.p2align	2                               ; -- Begin function _ZN12_GLOBAL__N_17runRingIa7FuncSumIaE7ProtoLLLi0ELi2ELi0EEEviiP15ncclDevWorkColl
	.type	_ZN12_GLOBAL__N_17runRingIa7FuncSumIaE7ProtoLLLi0ELi2ELi0EEEviiP15ncclDevWorkColl,@function
_ZN12_GLOBAL__N_17runRingIa7FuncSumIaE7ProtoLLLi0ELi2ELi0EEEviiP15ncclDevWorkColl: ; @_ZN12_GLOBAL__N_17runRingIa7FuncSumIaE7ProtoLLLi0ELi2ELi0EEEviiP15ncclDevWorkColl
; %bb.0:
	s_waitcnt vmcnt(0) expcnt(0) lgkmcnt(0)
	s_or_saveexec_b64 s[0:1], -1
	scratch_store_dword off, v63, s32 offset:32 ; 4-byte Folded Spill
	s_mov_b64 exec, s[0:1]
	v_accvgpr_write_b32 a5, v40             ;  Reload Reuse
	v_accvgpr_write_b32 a26, v41            ;  Reload Reuse
	v_accvgpr_write_b32 a27, v42            ;  Reload Reuse
	;; [unrolled: 1-line block ×6, first 2 shown]
	scratch_store_dword off, v47, s32 offset:28 ; 4-byte Folded Spill
	scratch_store_dword off, v56, s32 offset:24 ; 4-byte Folded Spill
	;; [unrolled: 1-line block ×7, first 2 shown]
	scratch_store_dword off, v62, s32       ; 4-byte Folded Spill
	v_writelane_b32 v63, s34, 0
	v_writelane_b32 v63, s35, 1
	;; [unrolled: 1-line block ×25, first 2 shown]
	s_nop 1
	v_writelane_b32 v63, s31, 25
	s_trap 2
	ds_read_b64 v[4:5], v0
	flat_load_ushort v9, v[2:3] offset:8
	flat_load_dwordx2 v[16:17], v[2:3]
	ds_read_b32 v6, v0
	v_mov_b32_e32 v14, v0
                                        ; implicit-def: $vgpr50_vgpr51
                                        ; implicit-def: $vgpr44_vgpr45
	s_waitcnt lgkmcnt(0)
	flat_load_dwordx2 v[36:37], v[4:5]
                                        ; implicit-def: $vgpr4_vgpr5
	s_waitcnt vmcnt(0)
	v_mov_b32_e32 v8, v17
	v_cmp_ne_u32_sdwa s[0:1], v16, v6 src0_sel:BYTE_0 src1_sel:DWORD
	s_and_saveexec_b64 s[2:3], s[0:1]
	s_xor_b64 s[0:1], exec, s[2:3]
	s_cbranch_execz .LBB6_6
; %bb.1:
	v_not_b32_sdwa v0, v16 dst_sel:DWORD dst_unused:UNUSED_PAD src0_sel:BYTE_0
	v_cmp_ne_u32_sdwa s[2:3], v16, v6 src0_sel:BYTE_1 src1_sel:DWORD
                                        ; implicit-def: $vgpr50_vgpr51
                                        ; implicit-def: $vgpr4_vgpr5
                                        ; implicit-def: $vgpr44_vgpr45
	s_and_saveexec_b64 s[4:5], s[2:3]
	s_xor_b64 s[2:3], exec, s[4:5]
	s_cbranch_execz .LBB6_3
; %bb.2:
	flat_load_dwordx4 v[10:13], v[2:3] offset:72
	flat_load_dwordx2 v[4:5], v[2:3] offset:96
	v_add_u32_e32 v0, v6, v0
	v_ashrrev_i32_e32 v6, 31, v0
	s_waitcnt vmcnt(0) lgkmcnt(0)
	v_mul_lo_u32 v6, v12, v6
	v_mad_u64_u32 v[44:45], s[4:5], v12, v0, v[10:11]
	v_mul_lo_u32 v0, v13, v0
	v_lshrrev_b64 v[50:51], 21, v[4:5]
	v_add3_u32 v45, v0, v45, v6
	v_mov_b64_e32 v[4:5], v[12:13]
                                        ; implicit-def: $vgpr0
.LBB6_3:
	s_andn2_saveexec_b64 s[2:3], s[2:3]
	s_cbranch_execz .LBB6_5
; %bb.4:
	flat_load_dwordx4 v[10:13], v[2:3] offset:72
	flat_load_dwordx4 v[4:7], v[2:3] offset:88
	v_add_u32_sdwa v0, v16, v0 dst_sel:DWORD dst_unused:UNUSED_PAD src0_sel:BYTE_1 src1_sel:DWORD
	s_waitcnt vmcnt(0) lgkmcnt(0)
	v_ashrrev_i32_e32 v6, 31, v0
	v_mul_lo_u32 v6, v12, v6
	v_mad_u64_u32 v[44:45], s[4:5], v12, v0, v[10:11]
	v_mul_lo_u32 v0, v13, v0
	v_add3_u32 v45, v0, v45, v6
	v_lshrrev_b32_e32 v50, 10, v7
.LBB6_5:
	s_or_b64 exec, exec, s[2:3]
.LBB6_6:
	s_andn2_saveexec_b64 s[0:1], s[0:1]
	s_cbranch_execz .LBB6_8
; %bb.7:
	flat_load_dwordx2 v[4:5], v[2:3] offset:72
	flat_load_dwordx2 v[50:51], v[2:3] offset:96
	v_mov_b64_e32 v[44:45], 0
.LBB6_8:
	s_or_b64 exec, exec, s[0:1]
	flat_load_dwordx4 v[10:13], v[2:3] offset:16
	s_brev_b32 s0, 34
	v_and_b32_e32 v0, 0x44000000, v16
	v_cmp_eq_u32_e64 s[16:17], s0, v0
	v_mov_b32_e32 v0, v14
	v_bfe_u32 v3, v8, 1, 30
	v_cndmask_b32_e64 v2, v1, 64, s[16:17]
	v_cmp_ge_i32_e32 vcc, v0, v2
	s_and_saveexec_b64 s[0:1], vcc
	s_xor_b64 s[2:3], exec, s[0:1]
	s_cbranch_execz .LBB6_40
; %bb.9:
	s_waitcnt vmcnt(0) lgkmcnt(0)
	v_cmp_ne_u64_e32 vcc, v[12:13], v[10:11]
	v_cmp_eq_u32_e64 s[0:1], v36, v3
	s_and_b64 s[4:5], vcc, s[0:1]
	s_and_saveexec_b64 s[0:1], s[4:5]
	s_cbranch_execz .LBB6_39
; %bb.10:
	v_sub_u32_e32 v25, v14, v2
	v_ashrrev_i32_e32 v0, 31, v25
	v_lshrrev_b32_e32 v0, 26, v0
	v_add_u32_e32 v0, v25, v0
	v_and_b32_e32 v3, 0xffffffc0, v0
	v_sub_u32_e32 v22, v25, v3
	v_lshl_add_u64 v[6:7], v[12:13], 0, v[44:45]
	v_lshl_add_u64 v[16:17], v[10:11], 0, v[44:45]
	v_cmp_gt_i32_e32 vcc, 1, v22
	v_mov_b32_e32 v3, 0
	s_and_saveexec_b64 s[4:5], vcc
; %bb.11:
	v_or_b32_e32 v3, v6, v16
	v_and_b32_e32 v3, 15, v3
	v_cmp_ne_u32_e32 vcc, 0, v3
	s_nop 1
	v_cndmask_b32_e64 v3, 0, 1, vcc
; %bb.12:
	s_or_b64 exec, exec, s[4:5]
	v_ashrrev_i32_e32 v26, 6, v0
	v_sub_u32_e32 v24, v1, v2
	;;#ASMSTART
	;;#ASMEND
	s_nop 0
	v_cmp_ne_u32_e32 vcc, 0, v3
	s_cbranch_vccz .LBB6_14
; %bb.13:
	s_mov_b64 s[6:7], -1
	v_mov_b64_e32 v[0:1], 0
	s_and_b64 exec, exec, s[6:7]
	s_cbranch_execnz .LBB6_31
	s_branch .LBB6_39
.LBB6_14:
	v_ashrrev_i32_e32 v0, 31, v5
	v_lshrrev_b32_e32 v0, 20, v0
	v_mov_b32_e32 v1, 0
	v_lshl_add_u64 v[0:1], v[4:5], 0, v[0:1]
	v_ashrrev_i64 v[0:1], 12, v[0:1]
	v_ashrrev_i32_e32 v2, 31, v26
	v_sub_co_u32_e32 v8, vcc, v0, v26
	s_mov_b64 s[6:7], 0
	s_nop 0
	v_subb_co_u32_e32 v9, vcc, v1, v2, vcc
	v_cmp_lt_i64_e32 vcc, 0, v[8:9]
	s_and_saveexec_b64 s[4:5], vcc
	s_cbranch_execz .LBB6_18
; %bb.15:
	v_ashrrev_i32_e32 v14, 31, v24
	v_lshrrev_b32_e32 v14, 26, v14
	v_add_u32_e32 v14, v24, v14
	v_ashrrev_i32_e32 v18, 6, v14
	v_mov_b32_e32 v14, 0xfffff000
	v_lshlrev_b32_e32 v2, 4, v22
	v_lshl_add_u32 v14, v18, 12, v14
	v_lshl_add_u32 v2, v26, 12, v2
	v_ashrrev_i32_e32 v15, 31, v14
	s_mov_b64 s[10:11], 0x1000
	v_ashrrev_i32_e32 v3, 31, v2
	v_ashrrev_i32_e32 v19, 31, v18
	v_lshl_add_u64 v[20:21], v[14:15], 0, s[10:11]
.LBB6_16:                               ; =>This Inner Loop Header: Depth=1
	v_lshl_add_u64 v[14:15], v[2:3], 0, v[6:7]
	global_load_dwordx4 v[26:29], v[14:15], off nt
	global_load_dwordx4 v[30:33], v[14:15], off offset:1024 nt
	global_load_dwordx4 v[34:37], v[14:15], off offset:2048 nt
	global_load_dwordx4 v[48:51], v[14:15], off offset:3072 nt
	v_sub_co_u32_e32 v8, vcc, v8, v18
	v_lshl_add_u64 v[14:15], v[2:3], 0, v[16:17]
	s_nop 0
	v_subb_co_u32_e32 v9, vcc, v9, v19, vcc
	v_cmp_gt_i64_e32 vcc, 1, v[8:9]
	v_lshl_add_u64 v[6:7], v[6:7], 0, v[20:21]
	v_lshl_add_u64 v[16:17], v[16:17], 0, v[20:21]
	s_or_b64 s[6:7], vcc, s[6:7]
	s_waitcnt vmcnt(3)
	global_store_dwordx4 v[14:15], v[26:29], off nt
	s_waitcnt vmcnt(3)
	global_store_dwordx4 v[14:15], v[30:33], off offset:1024 nt
	s_waitcnt vmcnt(3)
	global_store_dwordx4 v[14:15], v[34:37], off offset:2048 nt
	s_waitcnt vmcnt(3)
	global_store_dwordx4 v[14:15], v[48:51], off offset:3072 nt
	s_andn2_b64 exec, exec, s[6:7]
	s_cbranch_execnz .LBB6_16
; %bb.17:
	s_or_b64 exec, exec, s[6:7]
.LBB6_18:
	s_or_b64 exec, exec, s[4:5]
	v_lshlrev_b64 v[16:17], 12, v[0:1]
	v_cmp_ne_u64_e32 vcc, v[4:5], v[16:17]
	s_mov_b64 s[6:7], 0
	v_mov_b64_e32 v[0:1], 0
                                        ; implicit-def: $vgpr25
                                        ; implicit-def: $vgpr26
	s_and_saveexec_b64 s[4:5], vcc
	s_cbranch_execz .LBB6_30
; %bb.19:
	v_sub_co_u32_e32 v0, vcc, v4, v16
	v_mov_b32_e32 v21, 0
	s_nop 0
	v_subb_co_u32_e32 v1, vcc, v5, v17, vcc
	v_ashrrev_i32_e32 v2, 31, v1
	v_lshrrev_b32_e32 v20, 22, v2
	v_lshl_add_u64 v[2:3], v[0:1], 0, v[20:21]
	v_ashrrev_i64 v[18:19], 10, v[2:3]
	v_and_b32_e32 v2, 0xfffffc00, v2
	v_lshl_add_u64 v[6:7], v[2:3], 0, v[16:17]
	v_sub_co_u32_e32 v2, vcc, v0, v2
	s_nop 1
	v_subb_co_u32_e32 v3, vcc, v1, v3, vcc
	v_cmp_lt_i64_e32 vcc, 15, v[2:3]
	s_and_saveexec_b64 s[6:7], vcc
; %bb.20:
	v_and_b32_e32 v20, 15, v4
	v_sub_co_u32_e32 v2, vcc, v2, v20
	v_lshl_add_u64 v[18:19], v[18:19], 0, 1
	s_nop 0
	v_subbrev_co_u32_e32 v3, vcc, 0, v3, vcc
	v_lshl_add_u64 v[6:7], v[2:3], 0, v[6:7]
	v_mov_b64_e32 v[2:3], v[20:21]
; %bb.21:
	s_or_b64 exec, exec, s[6:7]
	v_lshlrev_b32_e32 v4, 6, v8
	v_sub_u32_e32 v4, v22, v4
	v_ashrrev_i32_e32 v5, 31, v4
	v_lshrrev_b32_e32 v5, 26, v5
	v_add_u32_e32 v5, v4, v5
	v_ashrrev_i32_e32 v8, 6, v5
	v_and_b32_e32 v5, 0xffffffc0, v5
	v_sub_u32_e32 v27, v4, v5
	v_lshlrev_b32_e32 v4, 4, v27
	v_lshl_add_u32 v22, v8, 10, v4
	v_ashrrev_i32_e32 v23, 31, v22
	v_sub_co_u32_e32 v0, vcc, v0, v22
	v_ashrrev_i32_e32 v5, 31, v8
	s_nop 0
	v_subb_co_u32_e32 v1, vcc, v1, v23, vcc
	v_sub_co_u32_e32 v4, vcc, v18, v8
	s_nop 1
	v_subb_co_u32_e32 v5, vcc, v19, v5, vcc
	v_cmp_lt_i64_e32 vcc, 15, v[0:1]
	s_and_saveexec_b64 s[6:7], vcc
	s_cbranch_execz .LBB6_25
; %bb.22:
	v_ashrrev_i32_e32 v8, 31, v24
	v_lshrrev_b32_e32 v8, 26, v8
	v_add_u32_e32 v8, v24, v8
	v_ashrrev_i32_e32 v8, 6, v8
	v_lshlrev_b32_e32 v18, 10, v8
	v_add_u32_e32 v14, 0xfffffc00, v18
	v_ashrrev_i32_e32 v15, 31, v14
	s_mov_b64 s[10:11], 0x400
	v_lshl_add_u64 v[20:21], v[14:15], 0, s[10:11]
	v_lshl_add_u64 v[14:15], v[44:45], 0, v[16:17]
	v_ashrrev_i32_e32 v9, 31, v18
	v_ashrrev_i32_e32 v19, 31, v8
	v_lshl_add_u64 v[16:17], v[14:15], 0, v[22:23]
	s_mov_b64 s[10:11], 0
.LBB6_23:                               ; =>This Inner Loop Header: Depth=1
	v_lshl_add_u64 v[14:15], v[12:13], 0, v[16:17]
	global_load_dwordx4 v[28:31], v[14:15], off nt
	v_sub_co_u32_e32 v0, vcc, v0, v18
	v_lshl_add_u64 v[14:15], v[10:11], 0, v[16:17]
	s_nop 0
	v_subb_co_u32_e32 v1, vcc, v1, v9, vcc
	v_sub_co_u32_e32 v4, vcc, v4, v8
	v_lshl_add_u64 v[16:17], v[16:17], 0, v[20:21]
	s_nop 0
	v_subb_co_u32_e32 v5, vcc, v5, v19, vcc
	v_cmp_gt_i64_e32 vcc, 16, v[0:1]
	s_or_b64 s[10:11], vcc, s[10:11]
	s_waitcnt vmcnt(0)
	global_store_dwordx4 v[14:15], v[28:31], off nt
	s_andn2_b64 exec, exec, s[10:11]
	s_cbranch_execnz .LBB6_23
; %bb.24:
	s_or_b64 exec, exec, s[10:11]
.LBB6_25:
	s_or_b64 exec, exec, s[6:7]
	s_mov_b64 s[6:7], 0
	v_cmp_lt_i64_e32 vcc, 0, v[4:5]
	s_and_saveexec_b64 s[10:11], vcc
; %bb.26:
	v_ashrrev_i32_e32 v0, 31, v24
	v_lshrrev_b32_e32 v0, 26, v0
	v_add_u32_e32 v0, v24, v0
	v_ashrrev_i32_e32 v0, 6, v0
	v_sub_co_u32_e32 v4, vcc, v4, v0
; %bb.27:
	s_or_b64 exec, exec, s[10:11]
	v_cmp_ne_u64_e32 vcc, 0, v[2:3]
	v_mov_b64_e32 v[0:1], 0
                                        ; implicit-def: $vgpr25
                                        ; implicit-def: $vgpr26
	s_and_saveexec_b64 s[10:11], vcc
; %bb.28:
	v_lshlrev_b32_e32 v0, 6, v4
	v_sub_u32_e32 v25, v27, v0
	v_ashrrev_i32_e32 v0, 31, v25
	v_lshrrev_b32_e32 v0, 26, v0
	v_add_u32_e32 v0, v25, v0
	s_mov_b64 s[6:7], exec
	v_ashrrev_i32_e32 v26, 6, v0
	v_mov_b64_e32 v[0:1], v[6:7]
; %bb.29:
	s_or_b64 exec, exec, s[10:11]
	s_and_b64 s[6:7], s[6:7], exec
	v_mov_b64_e32 v[4:5], v[2:3]
.LBB6_30:
	s_or_b64 exec, exec, s[4:5]
	s_and_b64 exec, exec, s[6:7]
	s_cbranch_execz .LBB6_39
.LBB6_31:
	v_ashrrev_i32_e32 v2, 31, v5
	v_lshrrev_b32_e32 v2, 22, v2
	v_mov_b32_e32 v3, 0
	v_lshl_add_u64 v[2:3], v[4:5], 0, v[2:3]
	v_ashrrev_i64 v[6:7], 10, v[2:3]
	v_ashrrev_i32_e32 v3, 31, v26
	v_sub_co_u32_e32 v2, vcc, v6, v26
	s_mov_b64 s[6:7], 0
	s_nop 0
	v_subb_co_u32_e32 v3, vcc, v7, v3, vcc
	v_cmp_lt_i64_e32 vcc, 0, v[2:3]
	s_and_saveexec_b64 s[4:5], vcc
	s_cbranch_execz .LBB6_35
; %bb.32:
	v_ashrrev_i32_e32 v14, 31, v24
	v_ashrrev_i32_e32 v8, 31, v25
	v_lshrrev_b32_e32 v14, 26, v14
	v_lshrrev_b32_e32 v8, 26, v8
	v_add_u32_e32 v14, v24, v14
	v_add_u32_e32 v8, v25, v8
	v_ashrrev_i32_e32 v16, 6, v14
	v_mov_b32_e32 v14, 0xfffffc00
	v_and_b32_e32 v8, 0xffffffc0, v8
	v_lshl_add_u32 v14, v16, 10, v14
	v_sub_u32_e32 v8, v25, v8
	v_ashrrev_i32_e32 v15, 31, v14
	s_mov_b64 s[10:11], 0x400
	v_lshl_add_u32 v8, v26, 10, v8
	v_lshl_add_u64 v[18:19], v[14:15], 0, s[10:11]
	v_lshl_add_u64 v[14:15], v[44:45], 0, v[0:1]
	v_ashrrev_i32_e32 v9, 31, v8
	v_ashrrev_i32_e32 v17, 31, v16
	v_lshl_add_u64 v[20:21], v[14:15], 0, v[12:13]
	v_lshl_add_u64 v[22:23], v[14:15], 0, v[10:11]
.LBB6_33:                               ; =>This Inner Loop Header: Depth=1
	v_lshl_add_u64 v[14:15], v[8:9], 0, v[20:21]
	flat_load_ubyte v27, v[14:15] nt
	flat_load_ubyte v28, v[14:15] offset:64 nt
	flat_load_ubyte v29, v[14:15] offset:128 nt
	;; [unrolled: 1-line block ×15, first 2 shown]
	v_sub_co_u32_e32 v2, vcc, v2, v16
	v_lshl_add_u64 v[14:15], v[8:9], 0, v[22:23]
	s_nop 0
	v_subb_co_u32_e32 v3, vcc, v3, v17, vcc
	v_cmp_gt_i64_e32 vcc, 1, v[2:3]
	v_lshl_add_u64 v[20:21], v[20:21], 0, v[18:19]
	v_lshl_add_u64 v[22:23], v[22:23], 0, v[18:19]
	s_or_b64 s[6:7], vcc, s[6:7]
	s_waitcnt vmcnt(0) lgkmcnt(0)
	flat_store_byte v[14:15], v27 nt
	flat_store_byte v[14:15], v28 offset:64 nt
	flat_store_byte v[14:15], v29 offset:128 nt
	;; [unrolled: 1-line block ×15, first 2 shown]
	s_andn2_b64 exec, exec, s[6:7]
	s_cbranch_execnz .LBB6_33
; %bb.34:
	s_or_b64 exec, exec, s[6:7]
.LBB6_35:
	s_or_b64 exec, exec, s[4:5]
	v_lshlrev_b64 v[6:7], 10, v[6:7]
	v_cmp_ne_u64_e32 vcc, v[4:5], v[6:7]
	s_and_b64 exec, exec, vcc
	s_cbranch_execz .LBB6_39
; %bb.36:
	v_lshlrev_b32_e32 v3, 6, v26
	v_sub_u32_e32 v3, v25, v3
	v_lshlrev_b32_e32 v2, 6, v2
	v_sub_u32_e32 v16, v3, v2
	v_ashrrev_i32_e32 v17, 31, v16
	v_lshl_add_u64 v[2:3], v[6:7], 0, v[16:17]
	v_sub_co_u32_e32 v2, vcc, v4, v2
	s_mov_b64 s[4:5], 0
	s_nop 0
	v_subb_co_u32_e32 v3, vcc, v5, v3, vcc
	v_cmp_lt_i64_e32 vcc, 0, v[2:3]
	s_and_b64 exec, exec, vcc
	s_cbranch_execz .LBB6_39
; %bb.37:
	v_ashrrev_i32_e32 v4, 31, v24
	v_lshrrev_b32_e32 v4, 26, v4
	v_add_u32_e32 v4, v24, v4
	v_and_b32_e32 v4, 0xffffffc0, v4
	v_subrev_u32_e32 v8, 64, v4
	v_lshl_add_u64 v[0:1], v[44:45], 0, v[0:1]
	v_ashrrev_i32_e32 v9, 31, v8
	v_lshl_add_u64 v[0:1], v[0:1], 0, v[6:7]
	v_lshl_add_u64 v[8:9], v[8:9], 0, 64
	v_ashrrev_i32_e32 v5, 31, v4
	v_lshl_add_u64 v[0:1], v[0:1], 0, v[16:17]
.LBB6_38:                               ; =>This Inner Loop Header: Depth=1
	v_lshl_add_u64 v[6:7], v[12:13], 0, v[0:1]
	flat_load_ubyte v14, v[6:7] nt
	v_sub_co_u32_e32 v2, vcc, v2, v4
	v_lshl_add_u64 v[6:7], v[10:11], 0, v[0:1]
	s_nop 0
	v_subb_co_u32_e32 v3, vcc, v3, v5, vcc
	v_cmp_gt_i64_e32 vcc, 1, v[2:3]
	v_lshl_add_u64 v[0:1], v[0:1], 0, v[8:9]
	s_or_b64 s[4:5], vcc, s[4:5]
	s_waitcnt vmcnt(0) lgkmcnt(0)
	flat_store_byte v[6:7], v14 nt
	s_andn2_b64 exec, exec, s[4:5]
	s_cbranch_execnz .LBB6_38
.LBB6_39:
	s_or_b64 exec, exec, s[0:1]
                                        ; implicit-def: $vgpr36_vgpr37
                                        ; implicit-def: $vgpr44_vgpr45
                                        ; implicit-def: $vgpr4_vgpr5
                                        ; implicit-def: $vgpr50_vgpr51
                                        ; implicit-def: $vgpr3
                                        ; implicit-def: $vgpr2
                                        ; implicit-def: $vgpr14
                                        ; implicit-def: $vgpr31
                                        ; implicit-def: $vgpr12_vgpr13
                                        ; implicit-def: $vgpr8_vgpr9
.LBB6_40:
	s_andn2_saveexec_b64 s[18:19], s[2:3]
	s_cbranch_execz .LBB6_348
; %bb.41:
	s_load_dword s0, s[8:9], 0x0
	v_mov_b32_e32 v1, 0
	v_lshrrev_b64 v[6:7], 31, v[8:9]
	v_ashrrev_i32_e32 v15, 31, v14
	v_and_b32_e32 v9, 3, v6
	s_waitcnt lgkmcnt(0)
	s_cmp_lt_u32 s12, s0
	s_cselect_b32 s0, 12, 18
	s_add_u32 s0, s8, s0
	s_addc_u32 s1, s9, 0
	global_load_ushort v20, v1, s[0:1]
	s_trap 2
	ds_read_b32 v0, v0
	v_lshrrev_b32_e32 v6, 26, v15
	v_add_u32_e32 v6, v14, v6
	v_and_b32_e32 v6, 0xffffffc0, v6
	v_accvgpr_write_b32 a2, v14
	v_sub_u32_e32 v8, v14, v6
	s_waitcnt lgkmcnt(0)
	v_cmp_gt_i32_e32 vcc, 0, v0
	v_accvgpr_write_b32 a3, v15
	s_mov_b32 s2, 0
	v_mov_b64_e32 v[16:17], 0
	v_cmp_eq_u32_e64 s[0:1], 0, v8
	s_cbranch_vccnz .LBB6_43
; %bb.42:
	s_trap 2
	ds_read_b64 v[6:7], v0
	v_lshlrev_b64 v[14:15], 3, v[0:1]
	v_and_b32_e32 v1, 0xffff, v9
	s_movk_i32 s2, 0xa8
	s_waitcnt lgkmcnt(0)
	v_lshl_add_u64 v[6:7], v[6:7], 0, v[14:15]
	flat_load_dwordx2 v[6:7], v[6:7]
	s_waitcnt vmcnt(0) lgkmcnt(0)
	v_mad_u64_u32 v[6:7], s[2:3], v1, s2, v[6:7]
	flat_load_dwordx2 a[10:11], v[6:7] offset:504
	flat_load_dwordx2 v[14:15], v[6:7] offset:608
	s_mov_b64 s[2:3], 0x1f8
	v_lshl_add_u64 v[6:7], v[6:7], 0, s[2:3]
	v_cndmask_b32_e64 v23, 0, v7, s[0:1]
	v_cndmask_b32_e64 v22, 0, v6, s[0:1]
	s_mov_b32 s2, 1
	s_branch .LBB6_44
.LBB6_43:
	v_mov_b64_e32 v[22:23], v[16:17]
                                        ; implicit-def: $vgpr14_vgpr15
                                        ; implicit-def: $agpr10_agpr11
.LBB6_44:
	s_trap 2
	ds_read_b32 v6, v0
	s_waitcnt lgkmcnt(0)
	v_cmp_gt_i32_e32 vcc, 0, v6
	s_cbranch_vccnz .LBB6_46
; %bb.45:
	s_trap 2
	ds_read_b64 v[16:17], v0
	v_mov_b32_e32 v7, 0
	v_lshlrev_b64 v[6:7], 3, v[6:7]
	v_and_b32_e32 v1, 0xffff, v9
	s_movk_i32 s0, 0xa8
	s_waitcnt lgkmcnt(0)
	v_lshl_add_u64 v[6:7], v[16:17], 0, v[6:7]
	flat_load_dwordx2 v[6:7], v[6:7]
	v_cmp_eq_u32_e32 vcc, 0, v8
	s_waitcnt vmcnt(0) lgkmcnt(0)
	v_mad_u64_u32 v[6:7], s[0:1], v1, s0, v[6:7]
	flat_load_dwordx2 a[12:13], v[6:7]
	flat_load_dwordx2 v[26:27], v[6:7] offset:104
	v_cndmask_b32_e32 v17, 0, v7, vcc
	v_cndmask_b32_e32 v16, 0, v6, vcc
	s_branch .LBB6_47
.LBB6_46:
                                        ; implicit-def: $vgpr26_vgpr27
                                        ; implicit-def: $agpr12_agpr13
.LBB6_47:
	v_accvgpr_read_b32 v7, a3
	v_subrev_u32_e32 v1, 64, v2
	v_accvgpr_read_b32 v6, a2
	v_cmp_le_i32_e32 vcc, v1, v6
	v_mov_b64_e32 v[6:7], 0
	v_cmp_gt_i32_e64 s[0:1], s2, v8
	v_accvgpr_write_b32 a17, v7
	s_and_b64 s[20:21], vcc, s[0:1]
	v_accvgpr_write_b32 a16, v6
                                        ; implicit-def: $agpr14_agpr15
	s_and_saveexec_b64 s[0:1], s[20:21]
	s_cbranch_execz .LBB6_49
; %bb.48:
	flat_load_dwordx2 a[16:17], v[22:23] offset:56
	flat_load_dwordx2 a[14:15], v[22:23] offset:104
.LBB6_49:
	s_or_b64 exec, exec, s[0:1]
	v_accvgpr_read_b32 v9, a3
	v_accvgpr_read_b32 v8, a2
	v_cmp_gt_i32_e64 s[0:1], s2, v8
	v_mov_b64_e32 v[28:29], v[6:7]
                                        ; implicit-def: $vgpr38_vgpr39
	s_and_saveexec_b64 s[2:3], s[0:1]
	s_cbranch_execz .LBB6_51
; %bb.50:
	flat_load_dwordx2 v[28:29], v[16:17] offset:56
	s_waitcnt vmcnt(0) lgkmcnt(0)
	flat_load_dwordx2 v[38:39], v[28:29] sc0 sc1
	s_waitcnt vmcnt(0)
	flat_load_dwordx4 v[6:9], v[16:17] offset:96
.LBB6_51:
	s_or_b64 exec, exec, s[2:3]
	s_waitcnt vmcnt(0)
	v_cmp_ne_u64_e32 vcc, 0, v[4:5]
	v_mov_b64_e32 v[18:19], 0
	s_and_saveexec_b64 s[22:23], vcc
	s_cbranch_execnz .LBB6_55
; %bb.52:
	s_or_b64 exec, exec, s[22:23]
	s_and_saveexec_b64 s[2:3], s[20:21]
	s_cbranch_execnz .LBB6_328
.LBB6_53:
	s_or_b64 exec, exec, s[2:3]
	s_and_saveexec_b64 s[2:3], s[0:1]
	s_cbranch_execnz .LBB6_329
.LBB6_54:
	s_or_b64 exec, exec, s[2:3]
	v_cmp_ne_u32_e32 vcc, 64, v2
	s_and_saveexec_b64 s[0:1], vcc
	s_cbranch_execnz .LBB6_330
	s_branch .LBB6_347
.LBB6_55:
	v_ashrrev_i32_e32 v1, 31, v0
	v_lshrrev_b32_e32 v1, 29, v1
	v_add_u32_e32 v0, v0, v1
	v_ashrrev_i32_e32 v62, 7, v0
	v_lshlrev_b32_e32 v0, 4, v50
	v_accvgpr_write_b32 a6, v16
	v_and_b32_e32 v48, 0x1fffff0, v0
	v_cvt_f64_u32_e32 v[0:1], 0
	v_accvgpr_write_b32 a8, v22
	v_accvgpr_write_b32 a7, v17
	v_ldexp_f64 v[0:1], v[0:1], 32
	v_cvt_f64_u32_e32 v[16:17], v48
	v_accvgpr_write_b32 a9, v23
	v_add_f64 v[22:23], v[0:1], v[16:17]
	v_cmp_ne_u32_e64 s[2:3], v36, v3
	v_cmp_ne_u32_e64 s[4:5], v37, v3
	v_and_b32_e32 v0, 63, v31
	v_ashrrev_i32_e32 v3, 31, v2
	v_cmp_eq_u32_e64 s[12:13], 0, v0
	v_lshrrev_b32_e32 v0, 26, v3
	v_add_u32_e32 v0, v2, v0
	v_accvgpr_read_b32 v17, a3
	v_ashrrev_i32_e32 v0, 6, v0
	v_accvgpr_read_b32 v16, a2
	v_ashrrev_i32_e32 v1, 31, v0
	v_lshlrev_b32_e32 v40, 3, v16
	v_accvgpr_write_b32 a21, v1
	v_ashrrev_i32_e32 v41, 31, v40
	v_accvgpr_write_b32 a20, v0
	v_lshl_add_u64 v[0:1], v[10:11], 0, v[40:41]
	v_accvgpr_write_b32 a23, v1
	v_accvgpr_write_b32 a22, v0
	s_waitcnt lgkmcnt(0)
	v_accvgpr_read_b32 v0, a16
	v_accvgpr_read_b32 v1, a17
	v_cmp_ne_u64_e64 s[14:15], 0, v[0:1]
	v_and_b32_e32 v0, 0x1fffff, v50
	v_accvgpr_write_b32 a4, v20
	v_cmp_ne_u32_sdwa s[26:27], v2, v20 src0_sel:DWORD src1_sel:WORD_0
	v_lshlrev_b32_e32 v20, 7, v0
	v_accvgpr_read_b32 v0, a12
	v_accvgpr_read_b32 v1, a13
	v_lshl_add_u64 v[56:57], v[44:45], 0, v[12:13]
	v_lshl_add_u64 v[0:1], v[16:17], 4, v[0:1]
	v_mov_b32_e32 v51, 0
	s_mov_b32 s28, 0
	v_lshlrev_b32_e32 v42, 3, v2
	v_cmp_ne_u64_e32 vcc, v[12:13], v[10:11]
	s_xor_b64 s[16:17], s[16:17], -1
	v_lshl_add_u64 v[58:59], v[56:57], 0, v[40:41]
	v_accvgpr_write_b32 a25, v1
	v_mov_b64_e32 v[36:37], 0
	v_accvgpr_write_b32 a0, v44
	v_accvgpr_write_b32 a18, v22
	v_mov_b32_e32 v49, v51
	s_mov_b64 s[24:25], 0
	v_cmp_ne_u64_e64 s[6:7], 0, v[28:29]
	v_cmp_ne_u64_e64 s[8:9], 0, v[6:7]
	v_cmp_ne_u32_e64 s[10:11], 64, v2
	v_mov_b32_e32 v30, v31
	s_mov_b32 s29, 1
	v_ashrrev_i32_e32 v43, 31, v42
	s_and_b64 s[30:31], s[16:17], vcc
	v_lshlrev_b64 v[46:47], 4, v[2:3]
	v_lshlrev_b32_e32 v52, 3, v58
	v_lshlrev_b32_e32 v53, 6, v2
	v_lshl_add_u64 v[60:61], v[10:11], 0, v[44:45]
	v_accvgpr_write_b32 a24, v0
	s_movk_i32 s56, 0x2710
	s_mov_b64 s[34:35], 0x7ffffff8
	v_mov_b32_e32 v31, 0
	v_mov_b64_e32 v[18:19], v[36:37]
	v_accvgpr_write_b32 a1, v45
	v_accvgpr_write_b32 a19, v23
	;; [unrolled: 1-line block ×3, first 2 shown]
	s_branch .LBB6_59
.LBB6_56:                               ;   in Loop: Header=BB6_59 Depth=1
	s_or_b64 exec, exec, s[16:17]
	v_lshl_add_u64 v[26:27], v[26:27], 0, 1
.LBB6_57:                               ;   in Loop: Header=BB6_59 Depth=1
	s_or_b64 exec, exec, s[38:39]
.LBB6_58:                               ;   in Loop: Header=BB6_59 Depth=1
	s_or_b64 exec, exec, s[36:37]
	v_lshl_add_u64 v[36:37], v[36:37], 0, v[48:49]
	v_cmp_ge_u64_e32 vcc, v[36:37], v[4:5]
	v_lshl_add_u64 v[56:57], v[56:57], 0, v[48:49]
	v_add_u32_e32 v52, v52, v20
	v_lshl_add_u64 v[60:61], v[60:61], 0, v[48:49]
	s_or_b64 s[24:25], vcc, s[24:25]
	v_lshl_add_u64 v[58:59], v[58:59], 0, v[48:49]
	s_andn2_b64 exec, exec, s[24:25]
	s_cbranch_execz .LBB6_327
.LBB6_59:                               ; =>This Loop Header: Depth=1
                                        ;     Child Loop BB6_68 Depth 2
                                        ;     Child Loop BB6_85 Depth 2
	;; [unrolled: 1-line block ×3, first 2 shown]
                                        ;       Child Loop BB6_130 Depth 3
                                        ;     Child Loop BB6_196 Depth 2
                                        ;     Child Loop BB6_102 Depth 2
	;; [unrolled: 1-line block ×3, first 2 shown]
                                        ;       Child Loop BB6_162 Depth 3
                                        ;     Child Loop BB6_208 Depth 2
                                        ;     Child Loop BB6_120 Depth 2
	;; [unrolled: 1-line block ×9, first 2 shown]
	v_sub_co_u32_e32 v3, vcc, v4, v36
	v_cvt_f64_u32_e32 v[10:11], v3
	s_nop 0
	v_subb_co_u32_e32 v0, vcc, v5, v37, vcc
	v_cvt_f64_u32_e32 v[0:1], v0
	v_ldexp_f64 v[0:1], v[0:1], 32
	v_add_f64 v[0:1], v[0:1], v[10:11]
	v_max_f64 v[10:11], v[22:23], v[22:23]
	v_min_f64 v[0:1], v[10:11], v[0:1]
	v_cvt_i32_f64_e32 v0, v[0:1]
	v_max_i32_e32 v3, 0, v0
	s_and_saveexec_b64 s[16:17], s[2:3]
	s_xor_b64 s[36:37], exec, s[16:17]
	s_cbranch_execz .LBB6_110
; %bb.60:                               ;   in Loop: Header=BB6_59 Depth=1
	v_lshl_add_u64 v[10:11], v[36:37], 0, v[44:45]
	s_and_saveexec_b64 s[16:17], s[4:5]
	s_xor_b64 s[38:39], exec, s[16:17]
	s_cbranch_execz .LBB6_104
; %bb.61:                               ;   in Loop: Header=BB6_59 Depth=1
	s_and_saveexec_b64 s[16:17], s[6:7]
	s_cbranch_execz .LBB6_77
; %bb.62:                               ;   in Loop: Header=BB6_59 Depth=1
	v_lshl_add_u64 v[0:1], v[8:9], 0, 1
	s_waitcnt vmcnt(0) lgkmcnt(0)
	v_lshl_add_u64 v[12:13], v[38:39], 0, 8
	v_cmp_lt_u64_e32 vcc, v[12:13], v[0:1]
	s_and_saveexec_b64 s[40:41], vcc
	s_cbranch_execz .LBB6_74
; %bb.63:                               ;   in Loop: Header=BB6_59 Depth=1
	s_sleep 1
	flat_load_dwordx2 v[38:39], v[28:29] sc1
	v_cmp_eq_u32_e32 vcc, 0, v31
	s_and_saveexec_b64 s[42:43], vcc
	s_cbranch_execz .LBB6_73
; %bb.64:                               ;   in Loop: Header=BB6_59 Depth=1
	v_cndmask_b32_e64 v9, 0, 1, vcc
	s_mov_b64 s[44:45], 0
                                        ; implicit-def: $sgpr46_sgpr47
	s_branch .LBB6_68
.LBB6_65:                               ;   in Loop: Header=BB6_68 Depth=2
	s_or_b64 exec, exec, s[54:55]
	s_orn2_b64 s[52:53], s[52:53], exec
.LBB6_66:                               ;   in Loop: Header=BB6_68 Depth=2
	s_or_b64 exec, exec, s[50:51]
	s_xor_b64 vcc, s[52:53], -1
	s_andn2_b64 s[46:47], s[46:47], exec
	s_and_b64 vcc, vcc, exec
	s_or_b64 s[46:47], s[46:47], vcc
.LBB6_67:                               ;   in Loop: Header=BB6_68 Depth=2
	s_or_b64 exec, exec, s[48:49]
	s_and_b64 vcc, exec, s[46:47]
	s_or_b64 s[44:45], vcc, s[44:45]
	s_andn2_b64 exec, exec, s[44:45]
	s_cbranch_execz .LBB6_72
.LBB6_68:                               ;   Parent Loop BB6_59 Depth=1
                                        ; =>  This Inner Loop Header: Depth=2
	s_waitcnt vmcnt(0) lgkmcnt(0)
	v_lshl_add_u64 v[12:13], v[38:39], 0, 8
	v_cmp_lt_u64_e32 vcc, v[12:13], v[0:1]
	v_mov_b32_e32 v31, 0
	s_or_b64 s[46:47], s[46:47], exec
	s_and_saveexec_b64 s[48:49], vcc
	s_cbranch_execz .LBB6_67
; %bb.69:                               ;   in Loop: Header=BB6_68 Depth=2
	s_sleep 1
	flat_load_dwordx2 v[38:39], v[28:29] sc1
	v_add_u32_e32 v9, 1, v9
	v_cmp_eq_u32_e32 vcc, s56, v9
	s_mov_b64 s[52:53], -1
	v_mov_b32_e32 v31, 0
	s_and_saveexec_b64 s[50:51], vcc
	s_cbranch_execz .LBB6_66
; %bb.70:                               ;   in Loop: Header=BB6_68 Depth=2
	s_trap 2
	ds_read_b64 v[12:13], v0
	v_mov_b32_e32 v9, 0
	v_mov_b32_e32 v31, 0
	s_waitcnt vmcnt(0) lgkmcnt(0)
	flat_load_dword v12, v[12:13] sc0 sc1
	s_waitcnt vmcnt(0) lgkmcnt(0)
	buffer_inv sc0 sc1
	v_cmp_ne_u32_e32 vcc, 0, v12
	s_and_saveexec_b64 s[54:55], vcc
	s_cbranch_execz .LBB6_65
; %bb.71:                               ;   in Loop: Header=BB6_68 Depth=2
	v_mov_b32_e32 v31, 1
	s_xor_b64 s[52:53], exec, -1
	ds_write_b32 v0, v12
	s_trap 2
	s_branch .LBB6_65
.LBB6_72:                               ;   in Loop: Header=BB6_59 Depth=1
	s_or_b64 exec, exec, s[44:45]
.LBB6_73:                               ;   in Loop: Header=BB6_59 Depth=1
	s_or_b64 exec, exec, s[42:43]
.LBB6_74:                               ;   in Loop: Header=BB6_59 Depth=1
	s_or_b64 exec, exec, s[40:41]
	s_and_saveexec_b64 s[40:41], s[8:9]
	s_cbranch_execz .LBB6_76
; %bb.75:                               ;   in Loop: Header=BB6_59 Depth=1
	v_add_u32_e32 v9, 7, v3
	v_ashrrev_i32_e32 v12, 31, v9
	v_lshrrev_b32_e32 v12, 29, v12
	v_add_u32_e32 v9, v9, v12
	v_and_b32_e32 v50, 0x7ffffff8, v8
	v_lshrrev_b32_e32 v9, 3, v9
	v_cmp_eq_u64_e32 vcc, s[34:35], v[50:51]
	v_and_b32_e32 v8, 7, v8
	s_nop 0
	v_cndmask_b32_e32 v9, v9, v62, vcc
	v_lshlrev_b32_e32 v12, 4, v9
	v_ashrrev_i32_e32 v13, 31, v12
	v_mad_u64_u32 v[8:9], vcc, v8, 24, v[6:7]
	flat_store_dwordx2 v[8:9], v[12:13] offset:8 sc0 sc1
	s_waitcnt vmcnt(0)
.LBB6_76:                               ;   in Loop: Header=BB6_59 Depth=1
	s_or_b64 exec, exec, s[40:41]
	v_mov_b64_e32 v[8:9], v[0:1]
.LBB6_77:                               ;   in Loop: Header=BB6_59 Depth=1
	s_or_b64 exec, exec, s[16:17]
	s_and_saveexec_b64 s[16:17], s[10:11]
	s_cbranch_execz .LBB6_96
; %bb.78:                               ;   in Loop: Header=BB6_59 Depth=1
	s_and_saveexec_b64 vcc, s[26:27]
	s_xor_b64 s[40:41], exec, vcc
	s_cbranch_execz .LBB6_93
; %bb.79:                               ;   in Loop: Header=BB6_59 Depth=1
	s_and_saveexec_b64 s[42:43], s[12:13]
	s_cbranch_execz .LBB6_92
; %bb.80:                               ;   in Loop: Header=BB6_59 Depth=1
	s_mov_b64 s[46:47], exec
	v_mbcnt_lo_u32_b32 v0, s46, 0
	v_mbcnt_hi_u32_b32 v0, s47, v0
	v_cmp_eq_u32_e32 vcc, 0, v0
	s_waitcnt lgkmcnt(0)
	s_and_saveexec_b64 s[44:45], vcc
	s_cbranch_execz .LBB6_82
; %bb.81:                               ;   in Loop: Header=BB6_59 Depth=1
	s_bcnt1_i32_b64 vcc_lo, s[46:47]
	v_mov_b32_e32 v50, vcc_lo
	ds_add_u64 v0, v[50:51]
	s_trap 2
.LBB6_82:                               ;   in Loop: Header=BB6_59 Depth=1
	s_or_b64 exec, exec, s[44:45]
	s_trap 2
	ds_read_b64 v[0:1], v0
	v_accvgpr_read_b32 v12, a20
	v_accvgpr_read_b32 v13, a21
	v_lshl_add_u64 v[18:19], v[18:19], 0, v[12:13]
	s_waitcnt lgkmcnt(0)
	v_cmp_lt_u64_e32 vcc, v[0:1], v[18:19]
	s_and_saveexec_b64 s[44:45], vcc
	s_cbranch_execz .LBB6_91
; %bb.83:                               ;   in Loop: Header=BB6_59 Depth=1
	s_mov_b32 s57, 0
	s_mov_b64 s[46:47], 0
                                        ; implicit-def: $sgpr48_sgpr49
                                        ; implicit-def: $sgpr50_sgpr51
	s_branch .LBB6_85
.LBB6_84:                               ;   in Loop: Header=BB6_85 Depth=2
	s_or_b64 exec, exec, s[54:55]
	s_and_b64 vcc, exec, vcc
	s_or_b64 s[46:47], vcc, s[46:47]
	s_andn2_b64 vcc, s[48:49], exec
	s_and_b64 s[48:49], s[50:51], exec
	s_or_b64 s[48:49], vcc, s[48:49]
	s_andn2_b64 exec, exec, s[46:47]
	s_cbranch_execz .LBB6_89
.LBB6_85:                               ;   Parent Loop BB6_59 Depth=1
                                        ; =>  This Inner Loop Header: Depth=2
	s_add_i32 s57, s57, 1
	s_cmpk_lg_i32 s57, 0x2710
	s_cselect_b64 s[52:53], -1, 0
	s_and_b64 vcc, exec, s[52:53]
                                        ; implicit-def: $sgpr54_sgpr55
	s_cbranch_vccnz .LBB6_87
; %bb.86:                               ;   in Loop: Header=BB6_85 Depth=2
	s_trap 2
	ds_read_b64 v[0:1], v0
	s_andn2_b64 s[52:53], s[52:53], exec
	s_mov_b32 s57, 0
	s_mov_b64 s[54:55], -1
	s_waitcnt vmcnt(0) lgkmcnt(0)
	flat_load_dword v0, v[0:1] sc0 sc1
	s_waitcnt vmcnt(0) lgkmcnt(0)
	buffer_inv sc0 sc1
	v_cmp_eq_u32_e32 vcc, 0, v0
	s_and_b64 vcc, vcc, exec
	s_or_b64 s[52:53], s[52:53], vcc
.LBB6_87:                               ;   in Loop: Header=BB6_85 Depth=2
	s_andn2_b64 s[50:51], s[50:51], exec
	s_and_b64 s[54:55], s[54:55], exec
	s_mov_b64 vcc, -1
	s_or_b64 s[50:51], s[50:51], s[54:55]
	s_and_saveexec_b64 s[54:55], s[52:53]
	s_cbranch_execz .LBB6_84
; %bb.88:                               ;   in Loop: Header=BB6_85 Depth=2
	s_sleep 1
	s_trap 2
	ds_read_b64 v[0:1], v0
	s_andn2_b64 s[50:51], s[50:51], exec
	s_waitcnt lgkmcnt(0)
	v_cmp_ge_u64_e32 vcc, v[0:1], v[18:19]
	s_orn2_b64 vcc, vcc, exec
	s_branch .LBB6_84
.LBB6_89:                               ;   in Loop: Header=BB6_59 Depth=1
	s_or_b64 exec, exec, s[46:47]
	s_and_saveexec_b64 vcc, s[48:49]
	s_xor_b64 vcc, exec, vcc
	s_cbranch_execz .LBB6_91
; %bb.90:                               ;   in Loop: Header=BB6_59 Depth=1
	v_mov_b32_e32 v0, 1
	ds_write_b32 v0, v0
	s_trap 2
.LBB6_91:                               ;   in Loop: Header=BB6_59 Depth=1
	s_or_b64 exec, exec, s[44:45]
	;;#ASMSTART
	s_wakeup
	;;#ASMEND
.LBB6_92:                               ;   in Loop: Header=BB6_59 Depth=1
	s_or_b64 exec, exec, s[42:43]
.LBB6_93:                               ;   in Loop: Header=BB6_59 Depth=1
	s_andn2_saveexec_b64 vcc, s[40:41]
	s_cbranch_execz .LBB6_95
; %bb.94:                               ;   in Loop: Header=BB6_59 Depth=1
	s_waitcnt lgkmcnt(0)
	s_barrier
.LBB6_95:                               ;   in Loop: Header=BB6_59 Depth=1
	s_or_b64 exec, exec, vcc
.LBB6_96:                               ;   in Loop: Header=BB6_59 Depth=1
	s_or_b64 exec, exec, s[16:17]
	v_sub_u32_e32 v50, v3, v40
	v_cmp_lt_i32_e32 vcc, 0, v50
	v_accvgpr_read_b32 v0, a2
	s_and_saveexec_b64 s[40:41], vcc
	s_cbranch_execnz .LBB6_124
; %bb.97:                               ;   in Loop: Header=BB6_59 Depth=1
	s_or_b64 exec, exec, s[40:41]
	s_and_saveexec_b64 s[16:17], s[10:11]
	s_cbranch_execnz .LBB6_189
.LBB6_98:                               ;   in Loop: Header=BB6_59 Depth=1
	s_or_b64 exec, exec, s[16:17]
	s_and_saveexec_b64 s[16:17], s[14:15]
	s_cbranch_execz .LBB6_100
.LBB6_99:                               ;   in Loop: Header=BB6_59 Depth=1
	v_accvgpr_read_b32 v10, a14
	v_accvgpr_read_b32 v11, a15
	v_lshl_add_u64 v[10:11], v[10:11], 0, 1
	v_accvgpr_write_b32 a15, v11
	v_accvgpr_read_b32 v12, a16
	v_accvgpr_write_b32 a14, v10
	v_accvgpr_read_b32 v13, a17
	flat_store_dwordx2 v[12:13], v[10:11] sc0 sc1
.LBB6_100:                              ;   in Loop: Header=BB6_59 Depth=1
	s_or_b64 exec, exec, s[16:17]
	v_and_b32_e32 v50, 0x7ffffff8, v26
	v_cmp_eq_u64_e32 vcc, s[34:35], v[50:51]
	v_cmp_gt_i32_e64 s[16:17], v62, v0
	s_and_b64 vcc, vcc, s[16:17]
	s_and_saveexec_b64 s[16:17], vcc
	s_cbranch_execz .LBB6_103
; %bb.101:                              ;   in Loop: Header=BB6_59 Depth=1
	v_and_b32_e32 v1, 7, v26
	v_mul_lo_u32 v12, v1, v62
	v_ashrrev_i32_e32 v13, 31, v12
	v_ashrrev_i32_e32 v1, 31, v0
	v_lshlrev_b64 v[12:13], 4, v[12:13]
	v_accvgpr_read_b32 v17, a13
	v_mov_b32_e32 v10, v51
	v_mov_b32_e32 v11, v26
	v_lshl_add_u64 v[12:13], v[0:1], 4, v[12:13]
	v_accvgpr_read_b32 v16, a12
	v_lshl_add_u64 v[10:11], v[10:11], 0, s[28:29]
	v_lshl_add_u64 v[16:17], v[16:17], 0, v[12:13]
	s_mov_b64 s[40:41], 0
.LBB6_102:                              ;   Parent Loop BB6_59 Depth=1
                                        ; =>  This Inner Loop Header: Depth=2
	v_add_u32_e32 v0, v0, v2
	v_mov_b32_e32 v12, v10
	v_mov_b32_e32 v13, v11
	v_cmp_ge_i32_e32 vcc, v0, v62
	global_store_dwordx4 v[16:17], v[10:13], off
	s_or_b64 s[40:41], vcc, s[40:41]
	v_lshl_add_u64 v[16:17], v[16:17], 0, v[46:47]
	s_andn2_b64 exec, exec, s[40:41]
	s_cbranch_execnz .LBB6_102
.LBB6_103:                              ;   in Loop: Header=BB6_59 Depth=1
	s_or_b64 exec, exec, s[16:17]
	v_lshl_add_u64 v[14:15], v[14:15], 0, 1
	v_lshl_add_u64 v[26:27], v[26:27], 0, 1
                                        ; implicit-def: $vgpr3
                                        ; implicit-def: $vgpr10_vgpr11
.LBB6_104:                              ;   in Loop: Header=BB6_59 Depth=1
	s_andn2_saveexec_b64 s[38:39], s[38:39]
	s_cbranch_execz .LBB6_116
; %bb.105:                              ;   in Loop: Header=BB6_59 Depth=1
	v_sub_u32_e32 v3, v3, v40
	v_cmp_lt_i32_e32 vcc, 0, v3
	s_and_saveexec_b64 s[40:41], vcc
	s_cbranch_execnz .LBB6_156
; %bb.106:                              ;   in Loop: Header=BB6_59 Depth=1
	s_or_b64 exec, exec, s[40:41]
	s_and_saveexec_b64 s[16:17], s[10:11]
	s_cbranch_execnz .LBB6_201
.LBB6_107:                              ;   in Loop: Header=BB6_59 Depth=1
	s_or_b64 exec, exec, s[16:17]
	s_and_saveexec_b64 s[16:17], s[14:15]
	s_cbranch_execz .LBB6_109
.LBB6_108:                              ;   in Loop: Header=BB6_59 Depth=1
	v_accvgpr_read_b32 v0, a14
	v_accvgpr_read_b32 v1, a15
	v_lshl_add_u64 v[0:1], v[0:1], 0, 1
	v_accvgpr_write_b32 a15, v1
	v_accvgpr_read_b32 v10, a16
	v_accvgpr_write_b32 a14, v0
	v_accvgpr_read_b32 v11, a17
	flat_store_dwordx2 v[10:11], v[0:1] sc0 sc1
.LBB6_109:                              ;   in Loop: Header=BB6_59 Depth=1
	s_or_b64 exec, exec, s[16:17]
	v_lshl_add_u64 v[14:15], v[14:15], 0, 1
	s_or_b64 exec, exec, s[38:39]
                                        ; implicit-def: $vgpr3
.LBB6_110:                              ;   in Loop: Header=BB6_59 Depth=1
	s_andn2_saveexec_b64 s[36:37], s[36:37]
	s_cbranch_execz .LBB6_58
.LBB6_111:                              ;   in Loop: Header=BB6_59 Depth=1
	v_add_u32_e32 v0, 7, v3
	v_ashrrev_i32_e32 v1, 31, v0
	v_lshrrev_b32_e32 v1, 29, v1
	v_add_u32_e32 v0, v0, v1
	v_ashrrev_i32_e32 v10, 3, v0
	s_and_saveexec_b64 s[16:17], s[30:31]
	s_xor_b64 s[38:39], exec, s[16:17]
	s_cbranch_execz .LBB6_280
; %bb.112:                              ;   in Loop: Header=BB6_59 Depth=1
	s_and_saveexec_b64 s[16:17], s[6:7]
	s_cbranch_execz .LBB6_217
; %bb.113:                              ;   in Loop: Header=BB6_59 Depth=1
	v_lshl_add_u64 v[0:1], v[8:9], 0, 1
	s_waitcnt vmcnt(0) lgkmcnt(0)
	v_lshl_add_u64 v[12:13], v[38:39], 0, 8
	v_cmp_lt_u64_e32 vcc, v[12:13], v[0:1]
	s_and_saveexec_b64 s[40:41], vcc
	s_cbranch_execz .LBB6_214
; %bb.114:                              ;   in Loop: Header=BB6_59 Depth=1
	s_sleep 1
	flat_load_dwordx2 v[38:39], v[28:29] sc1
	v_cmp_eq_u32_e32 vcc, 0, v31
	s_and_saveexec_b64 s[42:43], vcc
	s_cbranch_execz .LBB6_213
; %bb.115:                              ;   in Loop: Header=BB6_59 Depth=1
	v_cndmask_b32_e64 v9, 0, 1, vcc
	s_mov_b64 s[44:45], 0
                                        ; implicit-def: $sgpr46_sgpr47
	s_branch .LBB6_120
.LBB6_116:                              ;   in Loop: Header=BB6_59 Depth=1
	s_or_b64 exec, exec, s[38:39]
                                        ; implicit-def: $vgpr3
	s_andn2_saveexec_b64 s[36:37], s[36:37]
	s_cbranch_execz .LBB6_58
	s_branch .LBB6_111
.LBB6_117:                              ;   in Loop: Header=BB6_120 Depth=2
	s_or_b64 exec, exec, s[54:55]
	s_orn2_b64 s[52:53], s[52:53], exec
.LBB6_118:                              ;   in Loop: Header=BB6_120 Depth=2
	s_or_b64 exec, exec, s[50:51]
	s_xor_b64 vcc, s[52:53], -1
	s_andn2_b64 s[46:47], s[46:47], exec
	s_and_b64 vcc, vcc, exec
	s_or_b64 s[46:47], s[46:47], vcc
.LBB6_119:                              ;   in Loop: Header=BB6_120 Depth=2
	s_or_b64 exec, exec, s[48:49]
	s_and_b64 vcc, exec, s[46:47]
	s_or_b64 s[44:45], vcc, s[44:45]
	s_andn2_b64 exec, exec, s[44:45]
	s_cbranch_execz .LBB6_212
.LBB6_120:                              ;   Parent Loop BB6_59 Depth=1
                                        ; =>  This Inner Loop Header: Depth=2
	s_waitcnt vmcnt(0) lgkmcnt(0)
	v_lshl_add_u64 v[12:13], v[38:39], 0, 8
	v_cmp_lt_u64_e32 vcc, v[12:13], v[0:1]
	v_mov_b32_e32 v31, 0
	s_or_b64 s[46:47], s[46:47], exec
	s_and_saveexec_b64 s[48:49], vcc
	s_cbranch_execz .LBB6_119
; %bb.121:                              ;   in Loop: Header=BB6_120 Depth=2
	s_sleep 1
	flat_load_dwordx2 v[38:39], v[28:29] sc1
	v_add_u32_e32 v9, 1, v9
	v_cmp_eq_u32_e32 vcc, s56, v9
	s_mov_b64 s[52:53], -1
	v_mov_b32_e32 v31, 0
	s_and_saveexec_b64 s[50:51], vcc
	s_cbranch_execz .LBB6_118
; %bb.122:                              ;   in Loop: Header=BB6_120 Depth=2
	s_trap 2
	ds_read_b64 v[12:13], v0
	v_mov_b32_e32 v9, 0
	v_mov_b32_e32 v31, 0
	s_waitcnt vmcnt(0) lgkmcnt(0)
	flat_load_dword v11, v[12:13] sc0 sc1
	s_waitcnt vmcnt(0) lgkmcnt(0)
	buffer_inv sc0 sc1
	v_cmp_ne_u32_e32 vcc, 0, v11
	s_and_saveexec_b64 s[54:55], vcc
	s_cbranch_execz .LBB6_117
; %bb.123:                              ;   in Loop: Header=BB6_120 Depth=2
	v_mov_b32_e32 v31, 1
	s_xor_b64 s[52:53], exec, -1
	ds_write_b32 v0, v11
	s_trap 2
	s_branch .LBB6_117
.LBB6_124:                              ;   in Loop: Header=BB6_59 Depth=1
	v_accvgpr_read_b32 v0, a22
	v_accvgpr_read_b32 v1, a23
	v_lshl_add_u64 v[20:21], v[0:1], 0, v[10:11]
	v_and_b32_e32 v0, 7, v14
	v_mul_lo_u32 v0, v0, v62
	v_accvgpr_read_b32 v10, a10
	v_ashrrev_i32_e32 v1, 31, v0
	v_accvgpr_read_b32 v11, a11
	v_lshl_add_u64 v[44:45], v[0:1], 4, v[10:11]
	v_and_b32_e32 v0, 7, v26
	v_mul_lo_u32 v0, v0, v62
	v_accvgpr_read_b32 v10, a12
	v_ashrrev_i32_e32 v1, 31, v0
	v_accvgpr_read_b32 v11, a13
	v_lshl_add_u64 v[16:17], v[0:1], 4, v[10:11]
	v_mov_b32_e32 v0, v51
	v_mov_b32_e32 v1, v26
	v_add_u32_e32 v24, 1, v14
	v_lshl_add_u64 v[54:55], v[0:1], 0, s[28:29]
	s_mov_b64 s[42:43], 0
	v_accvgpr_read_b32 v0, a2
	s_branch .LBB6_126
.LBB6_125:                              ;   in Loop: Header=BB6_126 Depth=2
	v_sub_u32_e32 v50, v50, v42
	v_cmp_gt_i32_e32 vcc, 1, v50
	v_lshl_add_u64 v[20:21], v[20:21], 0, v[42:43]
	s_or_b64 s[42:43], vcc, s[42:43]
	v_add_u32_e32 v0, v0, v2
	s_andn2_b64 exec, exec, s[42:43]
	s_cbranch_execz .LBB6_188
.LBB6_126:                              ;   Parent Loop BB6_59 Depth=1
                                        ; =>  This Loop Header: Depth=2
                                        ;       Child Loop BB6_130 Depth 3
	v_ashrrev_i32_e32 v1, 31, v0
	v_lshl_add_u64 v[32:33], v[0:1], 4, v[44:45]
	global_load_dwordx4 v[10:13], v[32:33], off nt
	v_cmp_eq_u32_e32 vcc, 0, v31
	s_and_saveexec_b64 s[44:45], vcc
	s_cbranch_execz .LBB6_138
; %bb.127:                              ;   in Loop: Header=BB6_126 Depth=2
	s_waitcnt vmcnt(0)
	v_cmp_ne_u32_e32 vcc, v24, v11
	v_cmp_ne_u32_e64 s[16:17], v24, v13
	s_or_b64 s[16:17], vcc, s[16:17]
	v_mov_b32_e32 v31, 0
	s_and_saveexec_b64 s[46:47], s[16:17]
	s_cbranch_execz .LBB6_137
; %bb.128:                              ;   in Loop: Header=BB6_126 Depth=2
	s_mov_b32 s52, 1
	s_mov_b64 s[48:49], 0
	v_mov_b32_e32 v31, 0
	s_branch .LBB6_130
.LBB6_129:                              ;   in Loop: Header=BB6_130 Depth=3
	s_or_b64 exec, exec, s[50:51]
	s_and_b64 s[16:17], exec, s[16:17]
	s_or_b64 s[48:49], s[16:17], s[48:49]
	s_andn2_b64 exec, exec, s[48:49]
	s_cbranch_execz .LBB6_136
.LBB6_130:                              ;   Parent Loop BB6_59 Depth=1
                                        ;     Parent Loop BB6_126 Depth=2
                                        ; =>    This Inner Loop Header: Depth=3
	global_load_dwordx4 v[10:13], v[32:33], off nt
	s_add_i32 s52, s52, 1
	s_cmpk_lg_i32 s52, 0x2710
	s_cbranch_scc1 .LBB6_134
; %bb.131:                              ;   in Loop: Header=BB6_130 Depth=3
	s_trap 2
	ds_read_b64 v[22:23], v0
	s_waitcnt vmcnt(0) lgkmcnt(0)
	flat_load_dword v3, v[22:23] sc0 sc1
	s_waitcnt vmcnt(0) lgkmcnt(0)
	buffer_inv sc0 sc1
	v_cmp_ne_u32_e32 vcc, 0, v3
	s_and_saveexec_b64 s[16:17], vcc
	s_cbranch_execz .LBB6_133
; %bb.132:                              ;   in Loop: Header=BB6_130 Depth=3
	v_mov_b32_e32 v31, 1
	ds_write_b32 v0, v3
	s_trap 2
.LBB6_133:                              ;   in Loop: Header=BB6_130 Depth=3
	s_or_b64 exec, exec, s[16:17]
	s_mov_b32 s52, 0
	v_mov_b32_e32 v3, v31
	v_cmp_eq_u32_e32 vcc, 0, v3
	s_mov_b64 s[16:17], -1
	s_and_saveexec_b64 s[50:51], vcc
	s_cbranch_execz .LBB6_129
	s_branch .LBB6_135
.LBB6_134:                              ;   in Loop: Header=BB6_130 Depth=3
	v_mov_b32_e32 v3, 0
	v_cmp_eq_u32_e32 vcc, 0, v3
	s_mov_b64 s[16:17], -1
	s_and_saveexec_b64 s[50:51], vcc
	s_cbranch_execz .LBB6_129
.LBB6_135:                              ;   in Loop: Header=BB6_130 Depth=3
	s_waitcnt vmcnt(0)
	v_cmp_eq_u32_e32 vcc, v24, v11
	v_cmp_eq_u32_e64 s[16:17], v24, v13
	s_and_b64 s[16:17], vcc, s[16:17]
	s_orn2_b64 s[16:17], s[16:17], exec
	s_branch .LBB6_129
.LBB6_136:                              ;   in Loop: Header=BB6_126 Depth=2
	s_or_b64 exec, exec, s[48:49]
.LBB6_137:                              ;   in Loop: Header=BB6_126 Depth=2
	s_or_b64 exec, exec, s[46:47]
.LBB6_138:                              ;   in Loop: Header=BB6_126 Depth=2
	s_or_b64 exec, exec, s[44:45]
	v_cmp_lt_u32_e32 vcc, 7, v50
	v_lshl_add_u64 v[22:23], v[0:1], 4, v[16:17]
	s_waitcnt vmcnt(0)
	v_or_b32_e32 v32, v10, v54
	v_or_b32_e32 v34, v12, v54
	v_mov_b32_e32 v33, v55
	v_mov_b32_e32 v35, v55
	v_cndmask_b32_e64 v1, 0, 1, vcc
	global_store_dwordx4 v[22:23], v[32:35], off
	;;#ASMSTART
	;;#ASMEND
	v_mov_b32_e32 v3, v12
	v_cmp_ne_u32_e64 s[16:17], 0, v1
	s_cmp_lg_u64 s[16:17], exec
	s_mov_b64 s[16:17], -1
	s_cbranch_scc0 .LBB6_148
; %bb.139:                              ;   in Loop: Header=BB6_126 Depth=2
	v_cmp_ne_u32_e64 s[16:17], 1, v50
	flat_store_byte v[20:21], v10
	s_and_saveexec_b64 s[44:45], s[16:17]
	s_cbranch_execnz .LBB6_150
; %bb.140:                              ;   in Loop: Header=BB6_126 Depth=2
	s_or_b64 exec, exec, s[44:45]
	v_cmp_lt_u32_e64 s[16:17], 2, v50
	s_and_saveexec_b64 s[44:45], s[16:17]
	s_cbranch_execnz .LBB6_151
.LBB6_141:                              ;   in Loop: Header=BB6_126 Depth=2
	s_or_b64 exec, exec, s[44:45]
	v_cmp_lt_u32_e64 s[16:17], 3, v50
	s_and_saveexec_b64 s[44:45], s[16:17]
	s_cbranch_execnz .LBB6_152
.LBB6_142:                              ;   in Loop: Header=BB6_126 Depth=2
	s_or_b64 exec, exec, s[44:45]
	v_cmp_lt_u32_e64 s[16:17], 4, v50
	s_and_saveexec_b64 s[44:45], s[16:17]
	s_cbranch_execnz .LBB6_153
.LBB6_143:                              ;   in Loop: Header=BB6_126 Depth=2
	s_or_b64 exec, exec, s[44:45]
	v_cmp_lt_u32_e64 s[16:17], 5, v50
	s_and_saveexec_b64 s[44:45], s[16:17]
	s_cbranch_execnz .LBB6_154
.LBB6_144:                              ;   in Loop: Header=BB6_126 Depth=2
	s_or_b64 exec, exec, s[44:45]
	v_cmp_lt_u32_e64 s[16:17], 6, v50
	s_and_saveexec_b64 s[44:45], s[16:17]
	s_cbranch_execnz .LBB6_155
.LBB6_145:                              ;   in Loop: Header=BB6_126 Depth=2
	s_or_b64 exec, exec, s[44:45]
	s_and_saveexec_b64 s[16:17], vcc
	s_cbranch_execz .LBB6_147
.LBB6_146:                              ;   in Loop: Header=BB6_126 Depth=2
	v_lshrrev_b32_e32 v1, 24, v3
	flat_store_byte v[20:21], v1 offset:7
.LBB6_147:                              ;   in Loop: Header=BB6_126 Depth=2
	s_or_b64 exec, exec, s[16:17]
	s_mov_b64 s[16:17], 0
.LBB6_148:                              ;   in Loop: Header=BB6_126 Depth=2
	s_and_b64 vcc, exec, s[16:17]
	s_cbranch_vccz .LBB6_125
; %bb.149:                              ;   in Loop: Header=BB6_126 Depth=2
	v_or_b32_e32 v11, 0, v3
	global_store_dwordx2 v[20:21], v[10:11], off
	s_branch .LBB6_125
.LBB6_150:                              ;   in Loop: Header=BB6_126 Depth=2
	v_lshrrev_b32_e32 v1, 8, v10
	flat_store_byte v[20:21], v1 offset:1
	s_or_b64 exec, exec, s[44:45]
	v_cmp_lt_u32_e64 s[16:17], 2, v50
	s_and_saveexec_b64 s[44:45], s[16:17]
	s_cbranch_execz .LBB6_141
.LBB6_151:                              ;   in Loop: Header=BB6_126 Depth=2
	flat_store_byte_d16_hi v[20:21], v10 offset:2
	s_or_b64 exec, exec, s[44:45]
	v_cmp_lt_u32_e64 s[16:17], 3, v50
	s_and_saveexec_b64 s[44:45], s[16:17]
	s_cbranch_execz .LBB6_142
.LBB6_152:                              ;   in Loop: Header=BB6_126 Depth=2
	v_lshrrev_b32_e32 v1, 24, v10
	flat_store_byte v[20:21], v1 offset:3
	s_or_b64 exec, exec, s[44:45]
	v_cmp_lt_u32_e64 s[16:17], 4, v50
	s_and_saveexec_b64 s[44:45], s[16:17]
	s_cbranch_execz .LBB6_143
.LBB6_153:                              ;   in Loop: Header=BB6_126 Depth=2
	flat_store_byte v[20:21], v12 offset:4
	s_or_b64 exec, exec, s[44:45]
	v_cmp_lt_u32_e64 s[16:17], 5, v50
	s_and_saveexec_b64 s[44:45], s[16:17]
	s_cbranch_execz .LBB6_144
.LBB6_154:                              ;   in Loop: Header=BB6_126 Depth=2
	v_lshrrev_b32_e32 v1, 8, v3
	flat_store_byte v[20:21], v1 offset:5
	s_or_b64 exec, exec, s[44:45]
	v_cmp_lt_u32_e64 s[16:17], 6, v50
	s_and_saveexec_b64 s[44:45], s[16:17]
	s_cbranch_execz .LBB6_145
.LBB6_155:                              ;   in Loop: Header=BB6_126 Depth=2
	flat_store_byte_d16_hi v[20:21], v3 offset:6
	s_or_b64 exec, exec, s[44:45]
	s_and_saveexec_b64 s[16:17], vcc
	s_cbranch_execnz .LBB6_146
	s_branch .LBB6_147
.LBB6_156:                              ;   in Loop: Header=BB6_59 Depth=1
	v_accvgpr_read_b32 v0, a22
	v_accvgpr_read_b32 v1, a23
	v_lshl_add_u64 v[0:1], v[0:1], 0, v[10:11]
	v_and_b32_e32 v10, 7, v14
	v_mul_lo_u32 v10, v10, v62
	v_accvgpr_read_b32 v13, a11
	v_ashrrev_i32_e32 v11, 31, v10
	v_accvgpr_read_b32 v12, a10
	v_lshl_add_u64 v[16:17], v[10:11], 4, v[12:13]
	v_add_u32_e32 v24, 1, v14
	s_mov_b64 s[42:43], 0
	v_accvgpr_read_b32 v20, a2
	s_branch .LBB6_158
.LBB6_157:                              ;   in Loop: Header=BB6_158 Depth=2
	v_sub_u32_e32 v3, v3, v42
	v_cmp_gt_i32_e32 vcc, 1, v3
	v_lshl_add_u64 v[0:1], v[0:1], 0, v[42:43]
	s_or_b64 s[42:43], vcc, s[42:43]
	v_add_u32_e32 v20, v20, v2
	s_andn2_b64 exec, exec, s[42:43]
	s_cbranch_execz .LBB6_200
.LBB6_158:                              ;   Parent Loop BB6_59 Depth=1
                                        ; =>  This Loop Header: Depth=2
                                        ;       Child Loop BB6_162 Depth 3
	v_ashrrev_i32_e32 v21, 31, v20
	v_lshl_add_u64 v[54:55], v[20:21], 4, v[16:17]
	global_load_dwordx4 v[10:13], v[54:55], off nt
	v_cmp_eq_u32_e32 vcc, 0, v31
	s_and_saveexec_b64 s[44:45], vcc
	s_cbranch_execz .LBB6_170
; %bb.159:                              ;   in Loop: Header=BB6_158 Depth=2
	s_waitcnt vmcnt(0)
	v_cmp_ne_u32_e32 vcc, v24, v11
	v_cmp_ne_u32_e64 s[16:17], v24, v13
	s_or_b64 s[16:17], vcc, s[16:17]
	v_mov_b32_e32 v31, 0
	s_and_saveexec_b64 s[46:47], s[16:17]
	s_cbranch_execz .LBB6_169
; %bb.160:                              ;   in Loop: Header=BB6_158 Depth=2
	s_mov_b32 s52, 1
	s_mov_b64 s[48:49], 0
	v_mov_b32_e32 v31, 0
	s_branch .LBB6_162
.LBB6_161:                              ;   in Loop: Header=BB6_162 Depth=3
	s_or_b64 exec, exec, s[50:51]
	s_and_b64 s[16:17], exec, s[16:17]
	s_or_b64 s[48:49], s[16:17], s[48:49]
	s_andn2_b64 exec, exec, s[48:49]
	s_cbranch_execz .LBB6_168
.LBB6_162:                              ;   Parent Loop BB6_59 Depth=1
                                        ;     Parent Loop BB6_158 Depth=2
                                        ; =>    This Inner Loop Header: Depth=3
	global_load_dwordx4 v[10:13], v[54:55], off nt
	s_add_i32 s52, s52, 1
	s_cmpk_lg_i32 s52, 0x2710
	s_cbranch_scc1 .LBB6_166
; %bb.163:                              ;   in Loop: Header=BB6_162 Depth=3
	s_trap 2
	ds_read_b64 v[22:23], v0
	s_waitcnt vmcnt(0) lgkmcnt(0)
	flat_load_dword v21, v[22:23] sc0 sc1
	s_waitcnt vmcnt(0) lgkmcnt(0)
	buffer_inv sc0 sc1
	v_cmp_ne_u32_e32 vcc, 0, v21
	s_and_saveexec_b64 s[16:17], vcc
	s_cbranch_execz .LBB6_165
; %bb.164:                              ;   in Loop: Header=BB6_162 Depth=3
	v_mov_b32_e32 v31, 1
	ds_write_b32 v0, v21
	s_trap 2
.LBB6_165:                              ;   in Loop: Header=BB6_162 Depth=3
	s_or_b64 exec, exec, s[16:17]
	s_mov_b32 s52, 0
	v_mov_b32_e32 v21, v31
	v_cmp_eq_u32_e32 vcc, 0, v21
	s_mov_b64 s[16:17], -1
	s_and_saveexec_b64 s[50:51], vcc
	s_cbranch_execz .LBB6_161
	s_branch .LBB6_167
.LBB6_166:                              ;   in Loop: Header=BB6_162 Depth=3
	v_mov_b32_e32 v21, 0
	v_cmp_eq_u32_e32 vcc, 0, v21
	s_mov_b64 s[16:17], -1
	s_and_saveexec_b64 s[50:51], vcc
	s_cbranch_execz .LBB6_161
.LBB6_167:                              ;   in Loop: Header=BB6_162 Depth=3
	s_waitcnt vmcnt(0)
	v_cmp_eq_u32_e32 vcc, v24, v11
	v_cmp_eq_u32_e64 s[16:17], v24, v13
	s_and_b64 s[16:17], vcc, s[16:17]
	s_orn2_b64 s[16:17], s[16:17], exec
	s_branch .LBB6_161
.LBB6_168:                              ;   in Loop: Header=BB6_158 Depth=2
	s_or_b64 exec, exec, s[48:49]
.LBB6_169:                              ;   in Loop: Header=BB6_158 Depth=2
	s_or_b64 exec, exec, s[46:47]
.LBB6_170:                              ;   in Loop: Header=BB6_158 Depth=2
	s_or_b64 exec, exec, s[44:45]
	v_cmp_lt_u32_e32 vcc, 7, v3
	s_waitcnt vmcnt(0)
	v_mov_b32_e32 v11, v12
	v_cndmask_b32_e64 v13, 0, 1, vcc
	;;#ASMSTART
	;;#ASMEND
	s_nop 0
	v_cmp_ne_u32_e64 s[16:17], 0, v13
	s_cmp_lg_u64 s[16:17], exec
	s_mov_b64 s[16:17], -1
	s_cbranch_scc0 .LBB6_180
; %bb.171:                              ;   in Loop: Header=BB6_158 Depth=2
	v_cmp_ne_u32_e64 s[16:17], 1, v3
	flat_store_byte v[0:1], v10
	s_and_saveexec_b64 s[44:45], s[16:17]
	s_cbranch_execnz .LBB6_182
; %bb.172:                              ;   in Loop: Header=BB6_158 Depth=2
	s_or_b64 exec, exec, s[44:45]
	v_cmp_lt_u32_e64 s[16:17], 2, v3
	s_and_saveexec_b64 s[44:45], s[16:17]
	s_cbranch_execnz .LBB6_183
.LBB6_173:                              ;   in Loop: Header=BB6_158 Depth=2
	s_or_b64 exec, exec, s[44:45]
	v_cmp_lt_u32_e64 s[16:17], 3, v3
	s_and_saveexec_b64 s[44:45], s[16:17]
	s_cbranch_execnz .LBB6_184
.LBB6_174:                              ;   in Loop: Header=BB6_158 Depth=2
	s_or_b64 exec, exec, s[44:45]
	v_cmp_lt_u32_e64 s[16:17], 4, v3
	s_and_saveexec_b64 s[44:45], s[16:17]
	s_cbranch_execnz .LBB6_185
.LBB6_175:                              ;   in Loop: Header=BB6_158 Depth=2
	s_or_b64 exec, exec, s[44:45]
	v_cmp_lt_u32_e64 s[16:17], 5, v3
	s_and_saveexec_b64 s[44:45], s[16:17]
	s_cbranch_execnz .LBB6_186
.LBB6_176:                              ;   in Loop: Header=BB6_158 Depth=2
	s_or_b64 exec, exec, s[44:45]
	v_cmp_lt_u32_e64 s[16:17], 6, v3
	s_and_saveexec_b64 s[44:45], s[16:17]
	s_cbranch_execnz .LBB6_187
.LBB6_177:                              ;   in Loop: Header=BB6_158 Depth=2
	s_or_b64 exec, exec, s[44:45]
	s_and_saveexec_b64 s[16:17], vcc
	s_cbranch_execz .LBB6_179
.LBB6_178:                              ;   in Loop: Header=BB6_158 Depth=2
	v_lshrrev_b32_e32 v12, 24, v11
	flat_store_byte v[0:1], v12 offset:7
.LBB6_179:                              ;   in Loop: Header=BB6_158 Depth=2
	s_or_b64 exec, exec, s[16:17]
	s_mov_b64 s[16:17], 0
.LBB6_180:                              ;   in Loop: Header=BB6_158 Depth=2
	s_and_b64 vcc, exec, s[16:17]
	s_cbranch_vccz .LBB6_157
; %bb.181:                              ;   in Loop: Header=BB6_158 Depth=2
	global_store_dwordx2 v[0:1], v[10:11], off
	s_branch .LBB6_157
.LBB6_182:                              ;   in Loop: Header=BB6_158 Depth=2
	v_lshrrev_b32_e32 v13, 8, v10
	flat_store_byte v[0:1], v13 offset:1
	s_or_b64 exec, exec, s[44:45]
	v_cmp_lt_u32_e64 s[16:17], 2, v3
	s_and_saveexec_b64 s[44:45], s[16:17]
	s_cbranch_execz .LBB6_173
.LBB6_183:                              ;   in Loop: Header=BB6_158 Depth=2
	flat_store_byte_d16_hi v[0:1], v10 offset:2
	s_or_b64 exec, exec, s[44:45]
	v_cmp_lt_u32_e64 s[16:17], 3, v3
	s_and_saveexec_b64 s[44:45], s[16:17]
	s_cbranch_execz .LBB6_174
.LBB6_184:                              ;   in Loop: Header=BB6_158 Depth=2
	v_lshrrev_b32_e32 v13, 24, v10
	flat_store_byte v[0:1], v13 offset:3
	s_or_b64 exec, exec, s[44:45]
	v_cmp_lt_u32_e64 s[16:17], 4, v3
	s_and_saveexec_b64 s[44:45], s[16:17]
	s_cbranch_execz .LBB6_175
.LBB6_185:                              ;   in Loop: Header=BB6_158 Depth=2
	flat_store_byte v[0:1], v12 offset:4
	s_or_b64 exec, exec, s[44:45]
	v_cmp_lt_u32_e64 s[16:17], 5, v3
	s_and_saveexec_b64 s[44:45], s[16:17]
	s_cbranch_execz .LBB6_176
.LBB6_186:                              ;   in Loop: Header=BB6_158 Depth=2
	v_lshrrev_b32_e32 v12, 8, v11
	flat_store_byte v[0:1], v12 offset:5
	s_or_b64 exec, exec, s[44:45]
	v_cmp_lt_u32_e64 s[16:17], 6, v3
	s_and_saveexec_b64 s[44:45], s[16:17]
	s_cbranch_execz .LBB6_177
.LBB6_187:                              ;   in Loop: Header=BB6_158 Depth=2
	flat_store_byte_d16_hi v[0:1], v11 offset:6
	s_or_b64 exec, exec, s[44:45]
	s_and_saveexec_b64 s[16:17], vcc
	s_cbranch_execnz .LBB6_178
	s_branch .LBB6_179
.LBB6_188:                              ;   in Loop: Header=BB6_59 Depth=1
	s_or_b64 exec, exec, s[42:43]
	v_accvgpr_read_b32 v45, a1
	v_accvgpr_read_b32 v23, a19
	v_accvgpr_read_b32 v44, a0
	v_accvgpr_read_b32 v22, a18
	v_accvgpr_read_b32 v20, a3
	s_or_b64 exec, exec, s[40:41]
	s_and_saveexec_b64 s[16:17], s[10:11]
	s_cbranch_execz .LBB6_98
.LBB6_189:                              ;   in Loop: Header=BB6_59 Depth=1
	s_and_saveexec_b64 vcc, s[26:27]
	s_xor_b64 s[40:41], exec, vcc
	s_cbranch_execz .LBB6_233
; %bb.190:                              ;   in Loop: Header=BB6_59 Depth=1
	s_and_saveexec_b64 s[42:43], s[12:13]
	s_cbranch_execz .LBB6_232
; %bb.191:                              ;   in Loop: Header=BB6_59 Depth=1
	s_mov_b64 s[46:47], exec
	v_mbcnt_lo_u32_b32 v1, s46, 0
	v_mbcnt_hi_u32_b32 v1, s47, v1
	v_cmp_eq_u32_e32 vcc, 0, v1
	s_waitcnt lgkmcnt(0)
	s_and_saveexec_b64 s[44:45], vcc
	s_cbranch_execz .LBB6_193
; %bb.192:                              ;   in Loop: Header=BB6_59 Depth=1
	s_bcnt1_i32_b64 vcc_lo, s[46:47]
	v_mov_b32_e32 v50, vcc_lo
	ds_add_u64 v0, v[50:51]
	s_trap 2
.LBB6_193:                              ;   in Loop: Header=BB6_59 Depth=1
	s_or_b64 exec, exec, s[44:45]
	s_trap 2
	ds_read_b64 v[10:11], v0
	v_accvgpr_read_b32 v12, a20
	v_accvgpr_read_b32 v13, a21
	v_lshl_add_u64 v[18:19], v[18:19], 0, v[12:13]
	s_waitcnt lgkmcnt(0)
	v_cmp_lt_u64_e32 vcc, v[10:11], v[18:19]
	s_and_saveexec_b64 s[44:45], vcc
	s_cbranch_execz .LBB6_231
; %bb.194:                              ;   in Loop: Header=BB6_59 Depth=1
	s_mov_b32 s57, 0
	s_mov_b64 s[46:47], 0
                                        ; implicit-def: $sgpr48_sgpr49
                                        ; implicit-def: $sgpr50_sgpr51
	s_branch .LBB6_196
.LBB6_195:                              ;   in Loop: Header=BB6_196 Depth=2
	s_or_b64 exec, exec, s[54:55]
	s_and_b64 vcc, exec, vcc
	s_or_b64 s[46:47], vcc, s[46:47]
	s_andn2_b64 vcc, s[48:49], exec
	s_and_b64 s[48:49], s[50:51], exec
	s_or_b64 s[48:49], vcc, s[48:49]
	s_andn2_b64 exec, exec, s[46:47]
	s_cbranch_execz .LBB6_229
.LBB6_196:                              ;   Parent Loop BB6_59 Depth=1
                                        ; =>  This Inner Loop Header: Depth=2
	s_add_i32 s57, s57, 1
	s_cmpk_lg_i32 s57, 0x2710
	s_cselect_b64 s[52:53], -1, 0
	s_and_b64 vcc, exec, s[52:53]
                                        ; implicit-def: $sgpr54_sgpr55
	s_cbranch_vccnz .LBB6_198
; %bb.197:                              ;   in Loop: Header=BB6_196 Depth=2
	s_trap 2
	ds_read_b64 v[10:11], v0
	s_andn2_b64 s[52:53], s[52:53], exec
	s_mov_b32 s57, 0
	s_mov_b64 s[54:55], -1
	s_waitcnt vmcnt(0) lgkmcnt(0)
	flat_load_dword v1, v[10:11] sc0 sc1
	s_waitcnt vmcnt(0) lgkmcnt(0)
	buffer_inv sc0 sc1
	v_cmp_eq_u32_e32 vcc, 0, v1
	s_and_b64 vcc, vcc, exec
	s_or_b64 s[52:53], s[52:53], vcc
.LBB6_198:                              ;   in Loop: Header=BB6_196 Depth=2
	s_andn2_b64 s[50:51], s[50:51], exec
	s_and_b64 s[54:55], s[54:55], exec
	s_mov_b64 vcc, -1
	s_or_b64 s[50:51], s[50:51], s[54:55]
	s_and_saveexec_b64 s[54:55], s[52:53]
	s_cbranch_execz .LBB6_195
; %bb.199:                              ;   in Loop: Header=BB6_196 Depth=2
	s_sleep 1
	s_trap 2
	ds_read_b64 v[10:11], v0
	s_andn2_b64 s[50:51], s[50:51], exec
	s_waitcnt lgkmcnt(0)
	v_cmp_ge_u64_e32 vcc, v[10:11], v[18:19]
	s_orn2_b64 vcc, vcc, exec
	s_branch .LBB6_195
.LBB6_200:                              ;   in Loop: Header=BB6_59 Depth=1
	s_or_b64 exec, exec, s[42:43]
	v_accvgpr_read_b32 v23, a19
	v_accvgpr_read_b32 v22, a18
	;; [unrolled: 1-line block ×3, first 2 shown]
	s_or_b64 exec, exec, s[40:41]
	s_and_saveexec_b64 s[16:17], s[10:11]
	s_cbranch_execz .LBB6_107
.LBB6_201:                              ;   in Loop: Header=BB6_59 Depth=1
	s_and_saveexec_b64 vcc, s[26:27]
	s_xor_b64 s[40:41], exec, vcc
	s_cbranch_execz .LBB6_240
; %bb.202:                              ;   in Loop: Header=BB6_59 Depth=1
	s_and_saveexec_b64 s[42:43], s[12:13]
	s_cbranch_execz .LBB6_239
; %bb.203:                              ;   in Loop: Header=BB6_59 Depth=1
	s_mov_b64 s[46:47], exec
	v_mbcnt_lo_u32_b32 v0, s46, 0
	v_mbcnt_hi_u32_b32 v0, s47, v0
	v_cmp_eq_u32_e32 vcc, 0, v0
	s_waitcnt lgkmcnt(0)
	s_and_saveexec_b64 s[44:45], vcc
	s_cbranch_execz .LBB6_205
; %bb.204:                              ;   in Loop: Header=BB6_59 Depth=1
	s_bcnt1_i32_b64 vcc_lo, s[46:47]
	v_mov_b32_e32 v50, vcc_lo
	ds_add_u64 v0, v[50:51]
	s_trap 2
.LBB6_205:                              ;   in Loop: Header=BB6_59 Depth=1
	s_or_b64 exec, exec, s[44:45]
	s_trap 2
	ds_read_b64 v[0:1], v0
	v_accvgpr_read_b32 v10, a20
	v_accvgpr_read_b32 v11, a21
	v_lshl_add_u64 v[18:19], v[18:19], 0, v[10:11]
	s_waitcnt lgkmcnt(0)
	v_cmp_lt_u64_e32 vcc, v[0:1], v[18:19]
	s_and_saveexec_b64 s[44:45], vcc
	s_cbranch_execz .LBB6_238
; %bb.206:                              ;   in Loop: Header=BB6_59 Depth=1
	s_mov_b32 s57, 0
	s_mov_b64 s[46:47], 0
                                        ; implicit-def: $sgpr48_sgpr49
                                        ; implicit-def: $sgpr50_sgpr51
	s_branch .LBB6_208
.LBB6_207:                              ;   in Loop: Header=BB6_208 Depth=2
	s_or_b64 exec, exec, s[54:55]
	s_and_b64 vcc, exec, vcc
	s_or_b64 s[46:47], vcc, s[46:47]
	s_andn2_b64 vcc, s[48:49], exec
	s_and_b64 s[48:49], s[50:51], exec
	s_or_b64 s[48:49], vcc, s[48:49]
	s_andn2_b64 exec, exec, s[46:47]
	s_cbranch_execz .LBB6_236
.LBB6_208:                              ;   Parent Loop BB6_59 Depth=1
                                        ; =>  This Inner Loop Header: Depth=2
	s_add_i32 s57, s57, 1
	s_cmpk_lg_i32 s57, 0x2710
	s_cselect_b64 s[52:53], -1, 0
	s_and_b64 vcc, exec, s[52:53]
                                        ; implicit-def: $sgpr54_sgpr55
	s_cbranch_vccnz .LBB6_210
; %bb.209:                              ;   in Loop: Header=BB6_208 Depth=2
	s_trap 2
	ds_read_b64 v[0:1], v0
	s_andn2_b64 s[52:53], s[52:53], exec
	s_mov_b32 s57, 0
	s_mov_b64 s[54:55], -1
	s_waitcnt vmcnt(0) lgkmcnt(0)
	flat_load_dword v0, v[0:1] sc0 sc1
	s_waitcnt vmcnt(0) lgkmcnt(0)
	buffer_inv sc0 sc1
	v_cmp_eq_u32_e32 vcc, 0, v0
	s_and_b64 vcc, vcc, exec
	s_or_b64 s[52:53], s[52:53], vcc
.LBB6_210:                              ;   in Loop: Header=BB6_208 Depth=2
	s_andn2_b64 s[50:51], s[50:51], exec
	s_and_b64 s[54:55], s[54:55], exec
	s_mov_b64 vcc, -1
	s_or_b64 s[50:51], s[50:51], s[54:55]
	s_and_saveexec_b64 s[54:55], s[52:53]
	s_cbranch_execz .LBB6_207
; %bb.211:                              ;   in Loop: Header=BB6_208 Depth=2
	s_sleep 1
	s_trap 2
	ds_read_b64 v[0:1], v0
	s_andn2_b64 s[50:51], s[50:51], exec
	s_waitcnt lgkmcnt(0)
	v_cmp_ge_u64_e32 vcc, v[0:1], v[18:19]
	s_orn2_b64 vcc, vcc, exec
	s_branch .LBB6_207
.LBB6_212:                              ;   in Loop: Header=BB6_59 Depth=1
	s_or_b64 exec, exec, s[44:45]
.LBB6_213:                              ;   in Loop: Header=BB6_59 Depth=1
	s_or_b64 exec, exec, s[42:43]
.LBB6_214:                              ;   in Loop: Header=BB6_59 Depth=1
	s_or_b64 exec, exec, s[40:41]
	s_and_saveexec_b64 s[40:41], s[8:9]
	s_cbranch_execz .LBB6_216
; %bb.215:                              ;   in Loop: Header=BB6_59 Depth=1
	v_and_b32_e32 v50, 0x7ffffff8, v8
	v_cmp_eq_u64_e32 vcc, s[34:35], v[50:51]
	v_and_b32_e32 v8, 7, v8
	s_nop 0
	v_cndmask_b32_e32 v9, v10, v62, vcc
	v_lshlrev_b32_e32 v10, 4, v9
	v_ashrrev_i32_e32 v11, 31, v10
	v_mad_u64_u32 v[8:9], vcc, v8, 24, v[6:7]
	flat_store_dwordx2 v[8:9], v[10:11] offset:8 sc0 sc1
	s_waitcnt vmcnt(0)
.LBB6_216:                              ;   in Loop: Header=BB6_59 Depth=1
	s_or_b64 exec, exec, s[40:41]
	v_mov_b64_e32 v[8:9], v[0:1]
.LBB6_217:                              ;   in Loop: Header=BB6_59 Depth=1
	s_or_b64 exec, exec, s[16:17]
	s_and_saveexec_b64 s[16:17], s[10:11]
	s_cbranch_execz .LBB6_250
; %bb.218:                              ;   in Loop: Header=BB6_59 Depth=1
	s_and_saveexec_b64 vcc, s[26:27]
	s_xor_b64 s[40:41], exec, vcc
	s_cbranch_execz .LBB6_247
; %bb.219:                              ;   in Loop: Header=BB6_59 Depth=1
	s_and_saveexec_b64 s[42:43], s[12:13]
	s_cbranch_execz .LBB6_246
; %bb.220:                              ;   in Loop: Header=BB6_59 Depth=1
	s_mov_b64 s[46:47], exec
	v_mbcnt_lo_u32_b32 v0, s46, 0
	v_mbcnt_hi_u32_b32 v0, s47, v0
	v_cmp_eq_u32_e32 vcc, 0, v0
	s_waitcnt lgkmcnt(0)
	s_and_saveexec_b64 s[44:45], vcc
	s_cbranch_execz .LBB6_222
; %bb.221:                              ;   in Loop: Header=BB6_59 Depth=1
	s_bcnt1_i32_b64 vcc_lo, s[46:47]
	v_mov_b32_e32 v50, vcc_lo
	ds_add_u64 v0, v[50:51]
	s_trap 2
.LBB6_222:                              ;   in Loop: Header=BB6_59 Depth=1
	s_or_b64 exec, exec, s[44:45]
	s_trap 2
	ds_read_b64 v[0:1], v0
	v_accvgpr_read_b32 v10, a20
	v_accvgpr_read_b32 v11, a21
	v_lshl_add_u64 v[18:19], v[18:19], 0, v[10:11]
	s_waitcnt lgkmcnt(0)
	v_cmp_lt_u64_e32 vcc, v[0:1], v[18:19]
	s_and_saveexec_b64 s[44:45], vcc
	s_cbranch_execz .LBB6_245
; %bb.223:                              ;   in Loop: Header=BB6_59 Depth=1
	s_mov_b32 s57, 0
	s_mov_b64 s[46:47], 0
                                        ; implicit-def: $sgpr48_sgpr49
                                        ; implicit-def: $sgpr50_sgpr51
	s_branch .LBB6_225
.LBB6_224:                              ;   in Loop: Header=BB6_225 Depth=2
	s_or_b64 exec, exec, s[54:55]
	s_and_b64 vcc, exec, vcc
	s_or_b64 s[46:47], vcc, s[46:47]
	s_andn2_b64 vcc, s[48:49], exec
	s_and_b64 s[48:49], s[50:51], exec
	s_or_b64 s[48:49], vcc, s[48:49]
	s_andn2_b64 exec, exec, s[46:47]
	s_cbranch_execz .LBB6_243
.LBB6_225:                              ;   Parent Loop BB6_59 Depth=1
                                        ; =>  This Inner Loop Header: Depth=2
	s_add_i32 s57, s57, 1
	s_cmpk_lg_i32 s57, 0x2710
	s_cselect_b64 s[52:53], -1, 0
	s_and_b64 vcc, exec, s[52:53]
                                        ; implicit-def: $sgpr54_sgpr55
	s_cbranch_vccnz .LBB6_227
; %bb.226:                              ;   in Loop: Header=BB6_225 Depth=2
	s_trap 2
	ds_read_b64 v[0:1], v0
	s_andn2_b64 s[52:53], s[52:53], exec
	s_mov_b32 s57, 0
	s_mov_b64 s[54:55], -1
	s_waitcnt vmcnt(0) lgkmcnt(0)
	flat_load_dword v0, v[0:1] sc0 sc1
	s_waitcnt vmcnt(0) lgkmcnt(0)
	buffer_inv sc0 sc1
	v_cmp_eq_u32_e32 vcc, 0, v0
	s_and_b64 vcc, vcc, exec
	s_or_b64 s[52:53], s[52:53], vcc
.LBB6_227:                              ;   in Loop: Header=BB6_225 Depth=2
	s_andn2_b64 s[50:51], s[50:51], exec
	s_and_b64 s[54:55], s[54:55], exec
	s_mov_b64 vcc, -1
	s_or_b64 s[50:51], s[50:51], s[54:55]
	s_and_saveexec_b64 s[54:55], s[52:53]
	s_cbranch_execz .LBB6_224
; %bb.228:                              ;   in Loop: Header=BB6_225 Depth=2
	s_sleep 1
	s_trap 2
	ds_read_b64 v[0:1], v0
	s_andn2_b64 s[50:51], s[50:51], exec
	s_waitcnt lgkmcnt(0)
	v_cmp_ge_u64_e32 vcc, v[0:1], v[18:19]
	s_orn2_b64 vcc, vcc, exec
	s_branch .LBB6_224
.LBB6_229:                              ;   in Loop: Header=BB6_59 Depth=1
	s_or_b64 exec, exec, s[46:47]
	s_and_saveexec_b64 vcc, s[48:49]
	s_xor_b64 vcc, exec, vcc
	s_cbranch_execz .LBB6_231
; %bb.230:                              ;   in Loop: Header=BB6_59 Depth=1
	v_mov_b32_e32 v1, 1
	ds_write_b32 v0, v1
	s_trap 2
.LBB6_231:                              ;   in Loop: Header=BB6_59 Depth=1
	s_or_b64 exec, exec, s[44:45]
	;;#ASMSTART
	s_wakeup
	;;#ASMEND
.LBB6_232:                              ;   in Loop: Header=BB6_59 Depth=1
	s_or_b64 exec, exec, s[42:43]
.LBB6_233:                              ;   in Loop: Header=BB6_59 Depth=1
	s_andn2_saveexec_b64 vcc, s[40:41]
	s_cbranch_execz .LBB6_235
; %bb.234:                              ;   in Loop: Header=BB6_59 Depth=1
	s_waitcnt lgkmcnt(0)
	s_barrier
.LBB6_235:                              ;   in Loop: Header=BB6_59 Depth=1
	s_or_b64 exec, exec, vcc
	s_or_b64 exec, exec, s[16:17]
	s_and_saveexec_b64 s[16:17], s[14:15]
	s_cbranch_execnz .LBB6_99
	s_branch .LBB6_100
.LBB6_236:                              ;   in Loop: Header=BB6_59 Depth=1
	s_or_b64 exec, exec, s[46:47]
	s_and_saveexec_b64 vcc, s[48:49]
	s_xor_b64 vcc, exec, vcc
	s_cbranch_execz .LBB6_238
; %bb.237:                              ;   in Loop: Header=BB6_59 Depth=1
	v_mov_b32_e32 v0, 1
	ds_write_b32 v0, v0
	s_trap 2
.LBB6_238:                              ;   in Loop: Header=BB6_59 Depth=1
	s_or_b64 exec, exec, s[44:45]
	;;#ASMSTART
	s_wakeup
	;;#ASMEND
.LBB6_239:                              ;   in Loop: Header=BB6_59 Depth=1
	s_or_b64 exec, exec, s[42:43]
.LBB6_240:                              ;   in Loop: Header=BB6_59 Depth=1
	s_andn2_saveexec_b64 vcc, s[40:41]
	s_cbranch_execz .LBB6_242
; %bb.241:                              ;   in Loop: Header=BB6_59 Depth=1
	s_waitcnt lgkmcnt(0)
	s_barrier
.LBB6_242:                              ;   in Loop: Header=BB6_59 Depth=1
	s_or_b64 exec, exec, vcc
	s_or_b64 exec, exec, s[16:17]
	s_and_saveexec_b64 s[16:17], s[14:15]
	s_cbranch_execnz .LBB6_108
	s_branch .LBB6_109
.LBB6_243:                              ;   in Loop: Header=BB6_59 Depth=1
	s_or_b64 exec, exec, s[46:47]
	s_and_saveexec_b64 vcc, s[48:49]
	s_xor_b64 vcc, exec, vcc
	s_cbranch_execz .LBB6_245
; %bb.244:                              ;   in Loop: Header=BB6_59 Depth=1
	v_mov_b32_e32 v0, 1
	ds_write_b32 v0, v0
	s_trap 2
.LBB6_245:                              ;   in Loop: Header=BB6_59 Depth=1
	s_or_b64 exec, exec, s[44:45]
	;;#ASMSTART
	s_wakeup
	;;#ASMEND
.LBB6_246:                              ;   in Loop: Header=BB6_59 Depth=1
	s_or_b64 exec, exec, s[42:43]
.LBB6_247:                              ;   in Loop: Header=BB6_59 Depth=1
	s_andn2_saveexec_b64 vcc, s[40:41]
	s_cbranch_execz .LBB6_249
; %bb.248:                              ;   in Loop: Header=BB6_59 Depth=1
	s_waitcnt lgkmcnt(0)
	s_barrier
.LBB6_249:                              ;   in Loop: Header=BB6_59 Depth=1
	s_or_b64 exec, exec, vcc
.LBB6_250:                              ;   in Loop: Header=BB6_59 Depth=1
	s_or_b64 exec, exec, s[16:17]
	v_sub_u32_e32 v1, v3, v40
	v_cmp_lt_i32_e32 vcc, 0, v1
	v_accvgpr_read_b32 v0, a2
	s_and_saveexec_b64 s[40:41], vcc
	s_cbranch_execz .LBB6_276
; %bb.251:                              ;   in Loop: Header=BB6_59 Depth=1
	v_and_b32_e32 v0, 7, v26
	v_mul_lo_u32 v12, v0, v62
	v_accvgpr_read_b32 v16, a24
	v_ashrrev_i32_e32 v13, 31, v12
	v_mov_b32_e32 v10, v51
	v_mov_b32_e32 v11, v26
	v_accvgpr_read_b32 v17, a25
	v_lshl_add_u64 v[10:11], v[10:11], 0, s[28:29]
	v_lshl_add_u64 v[12:13], v[12:13], 4, v[16:17]
	s_mov_b64 s[42:43], 0
	v_mov_b64_e32 v[16:17], v[60:61]
	v_mov_b32_e32 v3, v52
	v_mov_b64_e32 v[20:21], v[56:57]
	v_accvgpr_read_b32 v0, a2
	s_branch .LBB6_253
.LBB6_252:                              ;   in Loop: Header=BB6_253 Depth=2
	v_sub_u32_e32 v1, v1, v42
	v_cmp_gt_i32_e32 vcc, 1, v1
	v_add_u32_e32 v0, v0, v2
	v_lshl_add_u64 v[20:21], v[20:21], 0, v[42:43]
	v_add_u32_e32 v3, v3, v53
	v_lshl_add_u64 v[16:17], v[16:17], 0, v[42:43]
	s_or_b64 s[42:43], vcc, s[42:43]
	v_lshl_add_u64 v[12:13], v[12:13], 0, v[46:47]
	s_andn2_b64 exec, exec, s[42:43]
	s_cbranch_execz .LBB6_275
.LBB6_253:                              ;   Parent Loop BB6_59 Depth=1
                                        ; =>  This Inner Loop Header: Depth=2
	v_lshl_add_u64 v[22:23], v[40:41], 0, v[20:21]
	v_and_b32_e32 v32, -4, v22
	v_mov_b32_e32 v33, v23
	global_load_dword v24, v[32:33], off nt
	v_min_u32_e32 v50, 8, v1
	v_and_b32_e32 v54, 3, v22
	v_mov_b32_e32 v55, 0
	v_lshl_add_u64 v[44:45], v[54:55], 0, v[50:51]
	v_cmp_lt_u64_e32 vcc, 4, v[44:45]
	v_mov_b32_e32 v25, 0
	s_and_saveexec_b64 s[16:17], vcc
	s_cbranch_execz .LBB6_255
; %bb.254:                              ;   in Loop: Header=BB6_253 Depth=2
	global_load_dword v25, v[32:33], off offset:4 nt
.LBB6_255:                              ;   in Loop: Header=BB6_253 Depth=2
	s_or_b64 exec, exec, s[16:17]
	v_cmp_lt_u64_e32 vcc, 8, v[44:45]
	s_and_saveexec_b64 s[16:17], vcc
	s_cbranch_execz .LBB6_257
; %bb.256:                              ;   in Loop: Header=BB6_253 Depth=2
	global_load_dword v55, v[32:33], off offset:8 nt
.LBB6_257:                              ;   in Loop: Header=BB6_253 Depth=2
	s_or_b64 exec, exec, s[16:17]
	s_waitcnt vmcnt(0)
	v_alignbit_b32 v54, v25, v24, v3
	v_alignbit_b32 v55, v55, v25, v3
	v_or_b32_e32 v22, v10, v54
	v_or_b32_e32 v24, v10, v55
	v_mov_b32_e32 v23, v11
	v_mov_b32_e32 v25, v11
	v_cmp_lt_u32_e32 vcc, 7, v1
	global_store_dwordx4 v[12:13], v[22:25], off
	v_lshl_add_u64 v[32:33], v[16:17], 0, v[40:41]
	s_nop 0
	v_cndmask_b32_e64 v22, 0, 1, vcc
	;;#ASMSTART
	;;#ASMEND
	s_nop 0
	v_cmp_ne_u32_e64 s[16:17], 0, v22
	s_cmp_lg_u64 s[16:17], exec
	s_mov_b64 s[16:17], -1
	s_cbranch_scc0 .LBB6_267
; %bb.258:                              ;   in Loop: Header=BB6_253 Depth=2
	v_cmp_ne_u32_e64 s[16:17], 1, v1
	flat_store_byte v[32:33], v54
	s_and_saveexec_b64 s[44:45], s[16:17]
	s_cbranch_execnz .LBB6_269
; %bb.259:                              ;   in Loop: Header=BB6_253 Depth=2
	s_or_b64 exec, exec, s[44:45]
	v_cmp_lt_u32_e64 s[16:17], 2, v1
	s_and_saveexec_b64 s[44:45], s[16:17]
	s_cbranch_execnz .LBB6_270
.LBB6_260:                              ;   in Loop: Header=BB6_253 Depth=2
	s_or_b64 exec, exec, s[44:45]
	v_cmp_lt_u32_e64 s[16:17], 3, v1
	s_and_saveexec_b64 s[44:45], s[16:17]
	s_cbranch_execnz .LBB6_271
.LBB6_261:                              ;   in Loop: Header=BB6_253 Depth=2
	s_or_b64 exec, exec, s[44:45]
	v_cmp_lt_u32_e64 s[16:17], 4, v1
	s_and_saveexec_b64 s[44:45], s[16:17]
	s_cbranch_execnz .LBB6_272
.LBB6_262:                              ;   in Loop: Header=BB6_253 Depth=2
	s_or_b64 exec, exec, s[44:45]
	v_cmp_lt_u32_e64 s[16:17], 5, v1
	s_and_saveexec_b64 s[44:45], s[16:17]
	s_cbranch_execnz .LBB6_273
.LBB6_263:                              ;   in Loop: Header=BB6_253 Depth=2
	s_or_b64 exec, exec, s[44:45]
	v_cmp_lt_u32_e64 s[16:17], 6, v1
	s_and_saveexec_b64 s[44:45], s[16:17]
	s_cbranch_execnz .LBB6_274
.LBB6_264:                              ;   in Loop: Header=BB6_253 Depth=2
	s_or_b64 exec, exec, s[44:45]
	s_and_saveexec_b64 s[16:17], vcc
	s_cbranch_execz .LBB6_266
.LBB6_265:                              ;   in Loop: Header=BB6_253 Depth=2
	v_lshrrev_b32_e32 v22, 24, v55
	flat_store_byte v[32:33], v22 offset:7
.LBB6_266:                              ;   in Loop: Header=BB6_253 Depth=2
	s_or_b64 exec, exec, s[16:17]
	s_mov_b64 s[16:17], 0
.LBB6_267:                              ;   in Loop: Header=BB6_253 Depth=2
	s_and_b64 vcc, exec, s[16:17]
	s_cbranch_vccz .LBB6_252
; %bb.268:                              ;   in Loop: Header=BB6_253 Depth=2
	global_store_dwordx2 v[32:33], v[54:55], off
	s_branch .LBB6_252
.LBB6_269:                              ;   in Loop: Header=BB6_253 Depth=2
	v_lshrrev_b32_e32 v22, 8, v54
	flat_store_byte v[32:33], v22 offset:1
	s_or_b64 exec, exec, s[44:45]
	v_cmp_lt_u32_e64 s[16:17], 2, v1
	s_and_saveexec_b64 s[44:45], s[16:17]
	s_cbranch_execz .LBB6_260
.LBB6_270:                              ;   in Loop: Header=BB6_253 Depth=2
	flat_store_byte_d16_hi v[32:33], v54 offset:2
	s_or_b64 exec, exec, s[44:45]
	v_cmp_lt_u32_e64 s[16:17], 3, v1
	s_and_saveexec_b64 s[44:45], s[16:17]
	s_cbranch_execz .LBB6_261
.LBB6_271:                              ;   in Loop: Header=BB6_253 Depth=2
	v_lshrrev_b32_e32 v22, 24, v54
	flat_store_byte v[32:33], v22 offset:3
	s_or_b64 exec, exec, s[44:45]
	v_cmp_lt_u32_e64 s[16:17], 4, v1
	s_and_saveexec_b64 s[44:45], s[16:17]
	s_cbranch_execz .LBB6_262
.LBB6_272:                              ;   in Loop: Header=BB6_253 Depth=2
	flat_store_byte v[32:33], v55 offset:4
	s_or_b64 exec, exec, s[44:45]
	v_cmp_lt_u32_e64 s[16:17], 5, v1
	s_and_saveexec_b64 s[44:45], s[16:17]
	s_cbranch_execz .LBB6_263
.LBB6_273:                              ;   in Loop: Header=BB6_253 Depth=2
	v_lshrrev_b32_e32 v22, 8, v55
	flat_store_byte v[32:33], v22 offset:5
	s_or_b64 exec, exec, s[44:45]
	v_cmp_lt_u32_e64 s[16:17], 6, v1
	s_and_saveexec_b64 s[44:45], s[16:17]
	s_cbranch_execz .LBB6_264
.LBB6_274:                              ;   in Loop: Header=BB6_253 Depth=2
	flat_store_byte_d16_hi v[32:33], v55 offset:6
	s_or_b64 exec, exec, s[44:45]
	s_and_saveexec_b64 s[16:17], vcc
	s_cbranch_execnz .LBB6_265
	s_branch .LBB6_266
.LBB6_275:                              ;   in Loop: Header=BB6_59 Depth=1
	s_or_b64 exec, exec, s[42:43]
	v_accvgpr_read_b32 v45, a1
	v_accvgpr_read_b32 v23, a19
	;; [unrolled: 1-line block ×5, first 2 shown]
.LBB6_276:                              ;   in Loop: Header=BB6_59 Depth=1
	s_or_b64 exec, exec, s[40:41]
	v_and_b32_e32 v50, 0x7ffffff8, v26
	v_cmp_eq_u64_e32 vcc, s[34:35], v[50:51]
	v_cmp_gt_i32_e64 s[16:17], v62, v0
	s_and_b64 vcc, vcc, s[16:17]
	s_and_saveexec_b64 s[16:17], vcc
	s_cbranch_execz .LBB6_279
; %bb.277:                              ;   in Loop: Header=BB6_59 Depth=1
	v_and_b32_e32 v1, 7, v26
	v_mul_lo_u32 v12, v1, v62
	v_ashrrev_i32_e32 v13, 31, v12
	v_ashrrev_i32_e32 v1, 31, v0
	v_lshlrev_b64 v[12:13], 4, v[12:13]
	v_accvgpr_read_b32 v17, a13
	v_mov_b32_e32 v10, v51
	v_mov_b32_e32 v11, v26
	v_lshl_add_u64 v[12:13], v[0:1], 4, v[12:13]
	v_accvgpr_read_b32 v16, a12
	v_lshl_add_u64 v[10:11], v[10:11], 0, s[28:29]
	v_lshl_add_u64 v[16:17], v[16:17], 0, v[12:13]
	s_mov_b64 s[40:41], 0
.LBB6_278:                              ;   Parent Loop BB6_59 Depth=1
                                        ; =>  This Inner Loop Header: Depth=2
	v_add_u32_e32 v0, v0, v2
	v_mov_b32_e32 v12, v10
	v_mov_b32_e32 v13, v11
	v_cmp_ge_i32_e32 vcc, v0, v62
	global_store_dwordx4 v[16:17], v[10:13], off
	s_or_b64 s[40:41], vcc, s[40:41]
	v_lshl_add_u64 v[16:17], v[16:17], 0, v[46:47]
	s_andn2_b64 exec, exec, s[40:41]
	s_cbranch_execnz .LBB6_278
.LBB6_279:                              ;   in Loop: Header=BB6_59 Depth=1
	s_or_b64 exec, exec, s[16:17]
	v_lshl_add_u64 v[26:27], v[26:27], 0, 1
                                        ; implicit-def: $vgpr10
                                        ; implicit-def: $vgpr3
.LBB6_280:                              ;   in Loop: Header=BB6_59 Depth=1
	s_andn2_saveexec_b64 s[38:39], s[38:39]
	s_cbranch_execz .LBB6_57
; %bb.281:                              ;   in Loop: Header=BB6_59 Depth=1
	s_and_saveexec_b64 s[16:17], s[6:7]
	s_cbranch_execz .LBB6_297
; %bb.282:                              ;   in Loop: Header=BB6_59 Depth=1
	v_lshl_add_u64 v[0:1], v[8:9], 0, 1
	s_waitcnt vmcnt(0) lgkmcnt(0)
	v_lshl_add_u64 v[12:13], v[38:39], 0, 8
	v_cmp_lt_u64_e32 vcc, v[12:13], v[0:1]
	s_and_saveexec_b64 s[40:41], vcc
	s_cbranch_execz .LBB6_294
; %bb.283:                              ;   in Loop: Header=BB6_59 Depth=1
	s_sleep 1
	flat_load_dwordx2 v[38:39], v[28:29] sc1
	v_cmp_eq_u32_e32 vcc, 0, v31
	s_and_saveexec_b64 s[42:43], vcc
	s_cbranch_execz .LBB6_293
; %bb.284:                              ;   in Loop: Header=BB6_59 Depth=1
	v_cndmask_b32_e64 v9, 0, 1, vcc
	s_mov_b64 s[44:45], 0
                                        ; implicit-def: $sgpr46_sgpr47
	s_branch .LBB6_288
.LBB6_285:                              ;   in Loop: Header=BB6_288 Depth=2
	s_or_b64 exec, exec, s[54:55]
	s_orn2_b64 s[52:53], s[52:53], exec
.LBB6_286:                              ;   in Loop: Header=BB6_288 Depth=2
	s_or_b64 exec, exec, s[50:51]
	s_xor_b64 vcc, s[52:53], -1
	s_andn2_b64 s[46:47], s[46:47], exec
	s_and_b64 vcc, vcc, exec
	s_or_b64 s[46:47], s[46:47], vcc
.LBB6_287:                              ;   in Loop: Header=BB6_288 Depth=2
	s_or_b64 exec, exec, s[48:49]
	s_and_b64 vcc, exec, s[46:47]
	s_or_b64 s[44:45], vcc, s[44:45]
	s_andn2_b64 exec, exec, s[44:45]
	s_cbranch_execz .LBB6_292
.LBB6_288:                              ;   Parent Loop BB6_59 Depth=1
                                        ; =>  This Inner Loop Header: Depth=2
	s_waitcnt vmcnt(0) lgkmcnt(0)
	v_lshl_add_u64 v[12:13], v[38:39], 0, 8
	v_cmp_lt_u64_e32 vcc, v[12:13], v[0:1]
	v_mov_b32_e32 v31, 0
	s_or_b64 s[46:47], s[46:47], exec
	s_and_saveexec_b64 s[48:49], vcc
	s_cbranch_execz .LBB6_287
; %bb.289:                              ;   in Loop: Header=BB6_288 Depth=2
	s_sleep 1
	flat_load_dwordx2 v[38:39], v[28:29] sc1
	v_add_u32_e32 v9, 1, v9
	v_cmp_eq_u32_e32 vcc, s56, v9
	s_mov_b64 s[52:53], -1
	v_mov_b32_e32 v31, 0
	s_and_saveexec_b64 s[50:51], vcc
	s_cbranch_execz .LBB6_286
; %bb.290:                              ;   in Loop: Header=BB6_288 Depth=2
	s_trap 2
	ds_read_b64 v[12:13], v0
	v_mov_b32_e32 v9, 0
	v_mov_b32_e32 v31, 0
	s_waitcnt vmcnt(0) lgkmcnt(0)
	flat_load_dword v11, v[12:13] sc0 sc1
	s_waitcnt vmcnt(0) lgkmcnt(0)
	buffer_inv sc0 sc1
	v_cmp_ne_u32_e32 vcc, 0, v11
	s_and_saveexec_b64 s[54:55], vcc
	s_cbranch_execz .LBB6_285
; %bb.291:                              ;   in Loop: Header=BB6_288 Depth=2
	v_mov_b32_e32 v31, 1
	s_xor_b64 s[52:53], exec, -1
	ds_write_b32 v0, v11
	s_trap 2
	s_branch .LBB6_285
.LBB6_292:                              ;   in Loop: Header=BB6_59 Depth=1
	s_or_b64 exec, exec, s[44:45]
.LBB6_293:                              ;   in Loop: Header=BB6_59 Depth=1
	s_or_b64 exec, exec, s[42:43]
.LBB6_294:                              ;   in Loop: Header=BB6_59 Depth=1
	s_or_b64 exec, exec, s[40:41]
	s_and_saveexec_b64 s[40:41], s[8:9]
	s_cbranch_execz .LBB6_296
; %bb.295:                              ;   in Loop: Header=BB6_59 Depth=1
	v_and_b32_e32 v50, 0x7ffffff8, v8
	v_cmp_eq_u64_e32 vcc, s[34:35], v[50:51]
	v_and_b32_e32 v8, 7, v8
	s_nop 0
	v_cndmask_b32_e32 v9, v10, v62, vcc
	v_lshlrev_b32_e32 v10, 4, v9
	v_ashrrev_i32_e32 v11, 31, v10
	v_mad_u64_u32 v[8:9], vcc, v8, 24, v[6:7]
	flat_store_dwordx2 v[8:9], v[10:11] offset:8 sc0 sc1
	s_waitcnt vmcnt(0)
.LBB6_296:                              ;   in Loop: Header=BB6_59 Depth=1
	s_or_b64 exec, exec, s[40:41]
	v_mov_b64_e32 v[8:9], v[0:1]
.LBB6_297:                              ;   in Loop: Header=BB6_59 Depth=1
	s_or_b64 exec, exec, s[16:17]
	s_and_saveexec_b64 s[16:17], s[10:11]
	s_cbranch_execz .LBB6_316
; %bb.298:                              ;   in Loop: Header=BB6_59 Depth=1
	s_and_saveexec_b64 vcc, s[26:27]
	s_xor_b64 s[40:41], exec, vcc
	s_cbranch_execz .LBB6_313
; %bb.299:                              ;   in Loop: Header=BB6_59 Depth=1
	s_and_saveexec_b64 s[42:43], s[12:13]
	s_cbranch_execz .LBB6_312
; %bb.300:                              ;   in Loop: Header=BB6_59 Depth=1
	s_mov_b64 s[46:47], exec
	v_mbcnt_lo_u32_b32 v0, s46, 0
	v_mbcnt_hi_u32_b32 v0, s47, v0
	v_cmp_eq_u32_e32 vcc, 0, v0
	s_waitcnt lgkmcnt(0)
	s_and_saveexec_b64 s[44:45], vcc
	s_cbranch_execz .LBB6_302
; %bb.301:                              ;   in Loop: Header=BB6_59 Depth=1
	s_bcnt1_i32_b64 vcc_lo, s[46:47]
	v_mov_b32_e32 v50, vcc_lo
	ds_add_u64 v0, v[50:51]
	s_trap 2
.LBB6_302:                              ;   in Loop: Header=BB6_59 Depth=1
	s_or_b64 exec, exec, s[44:45]
	s_trap 2
	ds_read_b64 v[0:1], v0
	v_accvgpr_read_b32 v10, a20
	v_accvgpr_read_b32 v11, a21
	v_lshl_add_u64 v[18:19], v[18:19], 0, v[10:11]
	s_waitcnt lgkmcnt(0)
	v_cmp_lt_u64_e32 vcc, v[0:1], v[18:19]
	s_and_saveexec_b64 s[44:45], vcc
	s_cbranch_execz .LBB6_311
; %bb.303:                              ;   in Loop: Header=BB6_59 Depth=1
	s_mov_b32 s57, 0
	s_mov_b64 s[46:47], 0
                                        ; implicit-def: $sgpr48_sgpr49
                                        ; implicit-def: $sgpr50_sgpr51
	s_branch .LBB6_305
.LBB6_304:                              ;   in Loop: Header=BB6_305 Depth=2
	s_or_b64 exec, exec, s[54:55]
	s_and_b64 vcc, exec, vcc
	s_or_b64 s[46:47], vcc, s[46:47]
	s_andn2_b64 vcc, s[48:49], exec
	s_and_b64 s[48:49], s[50:51], exec
	s_or_b64 s[48:49], vcc, s[48:49]
	s_andn2_b64 exec, exec, s[46:47]
	s_cbranch_execz .LBB6_309
.LBB6_305:                              ;   Parent Loop BB6_59 Depth=1
                                        ; =>  This Inner Loop Header: Depth=2
	s_add_i32 s57, s57, 1
	s_cmpk_lg_i32 s57, 0x2710
	s_cselect_b64 s[52:53], -1, 0
	s_and_b64 vcc, exec, s[52:53]
                                        ; implicit-def: $sgpr54_sgpr55
	s_cbranch_vccnz .LBB6_307
; %bb.306:                              ;   in Loop: Header=BB6_305 Depth=2
	s_trap 2
	ds_read_b64 v[0:1], v0
	s_andn2_b64 s[52:53], s[52:53], exec
	s_mov_b32 s57, 0
	s_mov_b64 s[54:55], -1
	s_waitcnt vmcnt(0) lgkmcnt(0)
	flat_load_dword v0, v[0:1] sc0 sc1
	s_waitcnt vmcnt(0) lgkmcnt(0)
	buffer_inv sc0 sc1
	v_cmp_eq_u32_e32 vcc, 0, v0
	s_and_b64 vcc, vcc, exec
	s_or_b64 s[52:53], s[52:53], vcc
.LBB6_307:                              ;   in Loop: Header=BB6_305 Depth=2
	s_andn2_b64 s[50:51], s[50:51], exec
	s_and_b64 s[54:55], s[54:55], exec
	s_mov_b64 vcc, -1
	s_or_b64 s[50:51], s[50:51], s[54:55]
	s_and_saveexec_b64 s[54:55], s[52:53]
	s_cbranch_execz .LBB6_304
; %bb.308:                              ;   in Loop: Header=BB6_305 Depth=2
	s_sleep 1
	s_trap 2
	ds_read_b64 v[0:1], v0
	s_andn2_b64 s[50:51], s[50:51], exec
	s_waitcnt lgkmcnt(0)
	v_cmp_ge_u64_e32 vcc, v[0:1], v[18:19]
	s_orn2_b64 vcc, vcc, exec
	s_branch .LBB6_304
.LBB6_309:                              ;   in Loop: Header=BB6_59 Depth=1
	s_or_b64 exec, exec, s[46:47]
	s_and_saveexec_b64 vcc, s[48:49]
	s_xor_b64 vcc, exec, vcc
	s_cbranch_execz .LBB6_311
; %bb.310:                              ;   in Loop: Header=BB6_59 Depth=1
	v_mov_b32_e32 v0, 1
	ds_write_b32 v0, v0
	s_trap 2
.LBB6_311:                              ;   in Loop: Header=BB6_59 Depth=1
	s_or_b64 exec, exec, s[44:45]
	;;#ASMSTART
	s_wakeup
	;;#ASMEND
.LBB6_312:                              ;   in Loop: Header=BB6_59 Depth=1
	s_or_b64 exec, exec, s[42:43]
.LBB6_313:                              ;   in Loop: Header=BB6_59 Depth=1
	s_andn2_saveexec_b64 vcc, s[40:41]
	s_cbranch_execz .LBB6_315
; %bb.314:                              ;   in Loop: Header=BB6_59 Depth=1
	s_waitcnt lgkmcnt(0)
	s_barrier
.LBB6_315:                              ;   in Loop: Header=BB6_59 Depth=1
	s_or_b64 exec, exec, vcc
.LBB6_316:                              ;   in Loop: Header=BB6_59 Depth=1
	s_or_b64 exec, exec, s[16:17]
	v_sub_u32_e32 v3, v3, v40
	v_cmp_lt_i32_e32 vcc, 0, v3
	v_and_b32_e32 v1, 7, v26
	v_accvgpr_read_b32 v0, a2
	s_and_saveexec_b64 s[16:17], vcc
	s_cbranch_execz .LBB6_324
; %bb.317:                              ;   in Loop: Header=BB6_59 Depth=1
	v_mul_lo_u32 v12, v1, v62
	v_accvgpr_read_b32 v16, a24
	v_ashrrev_i32_e32 v13, 31, v12
	v_mov_b32_e32 v10, v51
	v_mov_b32_e32 v11, v26
	v_accvgpr_read_b32 v17, a25
	v_lshl_add_u64 v[10:11], v[10:11], 0, s[28:29]
	v_lshl_add_u64 v[12:13], v[12:13], 4, v[16:17]
	s_mov_b64 s[40:41], 0
	v_mov_b32_e32 v24, v52
	v_mov_b64_e32 v[16:17], v[58:59]
	v_accvgpr_read_b32 v0, a2
	s_branch .LBB6_319
.LBB6_318:                              ;   in Loop: Header=BB6_319 Depth=2
	s_or_b64 exec, exec, s[42:43]
	s_waitcnt vmcnt(0)
	v_alignbit_b32 v20, v32, v25, v24
	v_alignbit_b32 v21, v33, v32, v24
	v_sub_u32_e32 v3, v3, v42
	v_or_b32_e32 v20, v10, v20
	v_or_b32_e32 v22, v10, v21
	v_mov_b32_e32 v21, v11
	v_mov_b32_e32 v23, v11
	v_cmp_gt_i32_e32 vcc, 1, v3
	global_store_dwordx4 v[12:13], v[20:23], off
	v_add_u32_e32 v0, v0, v2
	v_lshl_add_u64 v[16:17], v[16:17], 0, v[42:43]
	v_add_u32_e32 v24, v24, v53
	s_or_b64 s[40:41], vcc, s[40:41]
	v_lshl_add_u64 v[12:13], v[12:13], 0, v[46:47]
	s_andn2_b64 exec, exec, s[40:41]
	s_cbranch_execz .LBB6_323
.LBB6_319:                              ;   Parent Loop BB6_59 Depth=1
                                        ; =>  This Inner Loop Header: Depth=2
	v_and_b32_e32 v20, -4, v16
	v_mov_b32_e32 v21, v17
	global_load_dword v25, v[20:21], off nt
	v_min_u32_e32 v50, 8, v3
	v_and_b32_e32 v32, 3, v16
	v_mov_b32_e32 v33, 0
	v_lshl_add_u64 v[54:55], v[32:33], 0, v[50:51]
	v_cmp_lt_u64_e32 vcc, 4, v[54:55]
	v_mov_b32_e32 v32, 0
	s_and_saveexec_b64 s[42:43], vcc
	s_cbranch_execz .LBB6_321
; %bb.320:                              ;   in Loop: Header=BB6_319 Depth=2
	global_load_dword v32, v[20:21], off offset:4 nt
.LBB6_321:                              ;   in Loop: Header=BB6_319 Depth=2
	s_or_b64 exec, exec, s[42:43]
	v_cmp_lt_u64_e32 vcc, 8, v[54:55]
	s_and_saveexec_b64 s[42:43], vcc
	s_cbranch_execz .LBB6_318
; %bb.322:                              ;   in Loop: Header=BB6_319 Depth=2
	global_load_dword v33, v[20:21], off offset:8 nt
	s_branch .LBB6_318
.LBB6_323:                              ;   in Loop: Header=BB6_59 Depth=1
	s_or_b64 exec, exec, s[40:41]
	v_accvgpr_read_b32 v23, a19
	v_accvgpr_read_b32 v22, a18
	v_accvgpr_read_b32 v20, a3
.LBB6_324:                              ;   in Loop: Header=BB6_59 Depth=1
	s_or_b64 exec, exec, s[16:17]
	v_and_b32_e32 v50, 0x7ffffff8, v26
	v_cmp_eq_u64_e32 vcc, s[34:35], v[50:51]
	v_cmp_gt_i32_e64 s[16:17], v62, v0
	s_and_b64 vcc, vcc, s[16:17]
	s_and_saveexec_b64 s[16:17], vcc
	s_cbranch_execz .LBB6_56
; %bb.325:                              ;   in Loop: Header=BB6_59 Depth=1
	v_mul_lo_u32 v12, v1, v62
	v_ashrrev_i32_e32 v13, 31, v12
	v_ashrrev_i32_e32 v1, 31, v0
	v_lshlrev_b64 v[12:13], 4, v[12:13]
	v_accvgpr_read_b32 v17, a13
	v_mov_b32_e32 v10, v51
	v_mov_b32_e32 v11, v26
	v_lshl_add_u64 v[12:13], v[0:1], 4, v[12:13]
	v_accvgpr_read_b32 v16, a12
	v_lshl_add_u64 v[10:11], v[10:11], 0, s[28:29]
	v_lshl_add_u64 v[16:17], v[16:17], 0, v[12:13]
	s_mov_b64 s[40:41], 0
.LBB6_326:                              ;   Parent Loop BB6_59 Depth=1
                                        ; =>  This Inner Loop Header: Depth=2
	v_add_u32_e32 v0, v0, v2
	v_mov_b32_e32 v12, v10
	v_mov_b32_e32 v13, v11
	v_cmp_ge_i32_e32 vcc, v0, v62
	global_store_dwordx4 v[16:17], v[10:13], off
	s_or_b64 s[40:41], vcc, s[40:41]
	v_lshl_add_u64 v[16:17], v[16:17], 0, v[46:47]
	s_andn2_b64 exec, exec, s[40:41]
	s_cbranch_execnz .LBB6_326
	s_branch .LBB6_56
.LBB6_327:
	s_or_b64 exec, exec, s[24:25]
	v_accvgpr_read_b32 v17, a7
	v_accvgpr_read_b32 v23, a9
	v_mov_b32_e32 v31, v30
	v_accvgpr_read_b32 v20, a4
	v_accvgpr_read_b32 v16, a6
	;; [unrolled: 1-line block ×3, first 2 shown]
	s_or_b64 exec, exec, s[22:23]
	s_and_saveexec_b64 s[2:3], s[20:21]
	s_cbranch_execz .LBB6_53
.LBB6_328:
	s_waitcnt lgkmcnt(0)
	flat_store_dwordx2 v[22:23], a[14:15] offset:104
	s_or_b64 exec, exec, s[2:3]
	s_and_saveexec_b64 s[2:3], s[0:1]
	s_cbranch_execz .LBB6_54
.LBB6_329:
	s_waitcnt lgkmcnt(0)
	flat_store_dwordx2 v[16:17], v[8:9] offset:104
	s_or_b64 exec, exec, s[2:3]
	v_cmp_ne_u32_e32 vcc, 64, v2
	s_and_saveexec_b64 s[0:1], vcc
	s_cbranch_execz .LBB6_347
.LBB6_330:
	v_cmp_ne_u32_sdwa s[2:3], v2, v20 src0_sel:DWORD src1_sel:WORD_0
	s_and_saveexec_b64 s[4:5], s[2:3]
	s_xor_b64 s[2:3], exec, s[4:5]
	s_cbranch_execz .LBB6_345
; %bb.331:
	v_and_b32_e32 v0, 63, v31
	v_cmp_eq_u32_e32 vcc, 0, v0
	s_and_saveexec_b64 s[4:5], vcc
	s_cbranch_execz .LBB6_344
; %bb.332:
	s_mov_b64 s[8:9], exec
	v_mbcnt_lo_u32_b32 v0, s8, 0
	v_mbcnt_hi_u32_b32 v0, s9, v0
	v_cmp_eq_u32_e32 vcc, 0, v0
	s_waitcnt lgkmcnt(0)
	s_and_saveexec_b64 s[6:7], vcc
	s_cbranch_execz .LBB6_334
; %bb.333:
	s_bcnt1_i32_b64 s8, s[8:9]
	v_mov_b32_e32 v0, s8
	v_mov_b32_e32 v1, 0
	ds_add_u64 v0, v[0:1]
	s_trap 2
.LBB6_334:
	s_or_b64 exec, exec, s[6:7]
	v_ashrrev_i32_e32 v0, 31, v2
	v_lshrrev_b32_e32 v0, 26, v0
	s_trap 2
	ds_read_b64 v[4:5], v0
	v_add_u32_e32 v0, v2, v0
	v_ashrrev_i32_e32 v0, 6, v0
	v_ashrrev_i32_e32 v1, 31, v0
	v_lshl_add_u64 v[0:1], v[18:19], 0, v[0:1]
	s_waitcnt lgkmcnt(0)
	v_cmp_lt_u64_e32 vcc, v[4:5], v[0:1]
	s_and_saveexec_b64 s[6:7], vcc
	s_cbranch_execz .LBB6_343
; %bb.335:
	s_mov_b32 s22, 0
	s_mov_b64 s[8:9], 0
                                        ; implicit-def: $sgpr10_sgpr11
                                        ; implicit-def: $sgpr12_sgpr13
	s_branch .LBB6_337
.LBB6_336:                              ;   in Loop: Header=BB6_337 Depth=1
	s_or_b64 exec, exec, s[20:21]
	s_and_b64 s[14:15], exec, s[16:17]
	s_or_b64 s[8:9], s[14:15], s[8:9]
	s_andn2_b64 s[10:11], s[10:11], exec
	s_and_b64 s[14:15], s[12:13], exec
	s_or_b64 s[10:11], s[10:11], s[14:15]
	s_andn2_b64 exec, exec, s[8:9]
	s_cbranch_execz .LBB6_341
.LBB6_337:                              ; =>This Inner Loop Header: Depth=1
	s_add_i32 s22, s22, 1
	s_cmpk_lg_i32 s22, 0x2710
	s_cselect_b64 s[14:15], -1, 0
	s_and_b64 vcc, exec, s[14:15]
                                        ; implicit-def: $sgpr20_sgpr21
	s_cbranch_vccnz .LBB6_339
; %bb.338:                              ;   in Loop: Header=BB6_337 Depth=1
	s_trap 2
	ds_read_b64 v[2:3], v0
	s_andn2_b64 s[14:15], s[14:15], exec
	s_mov_b32 s22, 0
	s_mov_b64 s[20:21], -1
	s_waitcnt vmcnt(0) lgkmcnt(0)
	flat_load_dword v2, v[2:3] sc0 sc1
	s_waitcnt vmcnt(0) lgkmcnt(0)
	buffer_inv sc0 sc1
	v_cmp_eq_u32_e32 vcc, 0, v2
	s_and_b64 s[16:17], vcc, exec
	s_or_b64 s[14:15], s[14:15], s[16:17]
.LBB6_339:                              ;   in Loop: Header=BB6_337 Depth=1
	s_andn2_b64 s[12:13], s[12:13], exec
	s_and_b64 s[20:21], s[20:21], exec
	s_mov_b64 s[16:17], -1
	s_or_b64 s[12:13], s[12:13], s[20:21]
	s_and_saveexec_b64 s[20:21], s[14:15]
	s_cbranch_execz .LBB6_336
; %bb.340:                              ;   in Loop: Header=BB6_337 Depth=1
	s_sleep 1
	s_trap 2
	ds_read_b64 v[2:3], v0
	s_andn2_b64 s[12:13], s[12:13], exec
	s_waitcnt lgkmcnt(0)
	v_cmp_ge_u64_e32 vcc, v[2:3], v[0:1]
	s_orn2_b64 s[16:17], vcc, exec
	s_branch .LBB6_336
.LBB6_341:
	s_or_b64 exec, exec, s[8:9]
	s_and_saveexec_b64 s[8:9], s[10:11]
	s_xor_b64 s[8:9], exec, s[8:9]
	s_cbranch_execz .LBB6_343
; %bb.342:
	v_mov_b32_e32 v0, 1
	ds_write_b32 v0, v0
	s_trap 2
.LBB6_343:
	s_or_b64 exec, exec, s[6:7]
	;;#ASMSTART
	s_wakeup
	;;#ASMEND
.LBB6_344:
	s_or_b64 exec, exec, s[4:5]
.LBB6_345:
	s_andn2_saveexec_b64 s[2:3], s[2:3]
	s_cbranch_execz .LBB6_347
; %bb.346:
	s_waitcnt lgkmcnt(0)
	s_barrier
.LBB6_347:
	s_or_b64 exec, exec, s[0:1]
.LBB6_348:
	s_or_b64 exec, exec, s[18:19]
	scratch_load_dword v62, off, s32        ; 4-byte Folded Reload
	scratch_load_dword v61, off, s32 offset:4 ; 4-byte Folded Reload
	scratch_load_dword v60, off, s32 offset:8 ; 4-byte Folded Reload
	;; [unrolled: 1-line block ×7, first 2 shown]
	v_readlane_b32 s30, v63, 24
	v_readlane_b32 s31, v63, 25
	;; [unrolled: 1-line block ×26, first 2 shown]
	v_accvgpr_read_b32 v46, a31             ;  Reload Reuse
	v_accvgpr_read_b32 v45, a30             ;  Reload Reuse
	;; [unrolled: 1-line block ×6, first 2 shown]
	v_accvgpr_read_b32 v40, a5              ;  Reload Reuse
	s_or_saveexec_b64 s[0:1], -1
	scratch_load_dword v63, off, s32 offset:32 ; 4-byte Folded Reload
	s_mov_b64 exec, s[0:1]
	s_waitcnt vmcnt(0) lgkmcnt(0)
	s_setpc_b64 s[30:31]
.Lfunc_end6:
	.size	_ZN12_GLOBAL__N_17runRingIa7FuncSumIaE7ProtoLLLi0ELi2ELi0EEEviiP15ncclDevWorkColl, .Lfunc_end6-_ZN12_GLOBAL__N_17runRingIa7FuncSumIaE7ProtoLLLi0ELi2ELi0EEEviiP15ncclDevWorkColl
                                        ; -- End function
	.section	.AMDGPU.csdata,"",@progbits
; Function info:
; codeLenInByte = 11204
; NumSgprs: 64
; NumVgprs: 64
; NumAgprs: 32
; TotalNumVgprs: 96
; ScratchSize: 40
; MemoryBound: 1
	.text
	.p2align	2                               ; -- Begin function _Z42ncclDevFunc_Broadcast_RING_LL_Sum_i8_0_0_2v
	.type	_Z42ncclDevFunc_Broadcast_RING_LL_Sum_i8_0_0_2v,@function
_Z42ncclDevFunc_Broadcast_RING_LL_Sum_i8_0_0_2v: ; @_Z42ncclDevFunc_Broadcast_RING_LL_Sum_i8_0_0_2v
; %bb.0:
	s_waitcnt vmcnt(0) expcnt(0) lgkmcnt(0)
	s_mov_b32 s0, s33
	s_mov_b32 s33, s32
	s_or_saveexec_b64 s[2:3], -1
	scratch_store_dword off, v43, s33 offset:16 ; 4-byte Folded Spill
	s_mov_b64 exec, s[2:3]
	v_writelane_b32 v43, s0, 34
	s_add_i32 s32, s32, 32
	scratch_store_dword off, v40, s33 offset:12 ; 4-byte Folded Spill
	scratch_store_dword off, v41, s33 offset:8 ; 4-byte Folded Spill
	;; [unrolled: 1-line block ×3, first 2 shown]
	scratch_store_dword off, v63, s33       ; 4-byte Folded Spill
	v_writelane_b32 v43, s34, 0
	v_writelane_b32 v43, s35, 1
	;; [unrolled: 1-line block ×33, first 2 shown]
	s_nop 1
	v_writelane_b32 v43, s31, 33
	s_trap 2
	ds_read_b32 v0, v0
	v_mov_b32_e32 v40, v31
	s_mov_b32 s60, s12
	s_mov_b64 s[58:59], s[8:9]
	s_waitcnt lgkmcnt(0)
	v_cmp_gt_i32_e32 vcc, 1, v0
	s_cbranch_vccnz .LBB7_8
; %bb.1:
	s_mov_b32 s61, 0
	v_and_b32_e32 v41, 0x3ff, v40
	s_mov_b64 s[62:63], src_shared_base
	v_mov_b32_e32 v42, 6
	s_branch .LBB7_3
.LBB7_2:                                ;   in Loop: Header=BB7_3 Depth=1
	s_or_b64 exec, exec, s[64:65]
	s_trap 2
	ds_read_b32 v0, v0
	s_add_i32 s61, s61, 1
	s_waitcnt lgkmcnt(0)
	v_cmp_lt_i32_e32 vcc, s61, v0
	s_cbranch_vccz .LBB7_8
.LBB7_3:                                ; =>This Inner Loop Header: Depth=1
	s_trap 2
	ds_read_b32 v0, v0
	s_cmp_eq_u32 s61, 0
	s_cbranch_scc1 .LBB7_6
; %bb.4:                                ;   in Loop: Header=BB7_3 Depth=1
	s_trap 2
	s_waitcnt lgkmcnt(0)
	ds_read_b32 v1, v0
	s_waitcnt lgkmcnt(0)
	v_xor_b32_e32 v1, v1, v0
	v_and_b32_e32 v1, 0xff0000, v1
	v_cmp_eq_u32_e32 vcc, 0, v1
	s_cbranch_vccnz .LBB7_6
; %bb.5:                                ;   in Loop: Header=BB7_3 Depth=1
	s_barrier
	ds_read_b32 v0, v0
.LBB7_6:                                ;   in Loop: Header=BB7_3 Depth=1
	s_waitcnt lgkmcnt(0)
	v_lshlrev_b32_sdwa v1, v42, v0 dst_sel:DWORD dst_unused:UNUSED_PAD src0_sel:DWORD src1_sel:BYTE_2
	v_cmp_lt_u32_e32 vcc, v41, v1
	s_and_saveexec_b64 s[64:65], vcc
	s_cbranch_execz .LBB7_2
; %bb.7:                                ;   in Loop: Header=BB7_3 Depth=1
	s_mov_b64 s[8:9], s[58:59]
	s_mov_b32 s12, s60
	v_mov_b32_e32 v31, v40
	v_mov_b32_e32 v0, v41
	;; [unrolled: 1-line block ×3, first 2 shown]
	s_getpc_b64 s[0:1]
	s_add_u32 s0, s0, _ZN12_GLOBAL__N_17runRingIa7FuncSumIaE7ProtoLLLi0ELi2ELi0EEEviiP15ncclDevWorkColl@rel32@lo+4
	s_addc_u32 s1, s1, _ZN12_GLOBAL__N_17runRingIa7FuncSumIaE7ProtoLLLi0ELi2ELi0EEEviiP15ncclDevWorkColl@rel32@hi+12
	s_swappc_b64 s[30:31], s[0:1]
	s_branch .LBB7_2
.LBB7_8:
	scratch_load_dword v63, off, s33        ; 4-byte Folded Reload
	scratch_load_dword v42, off, s33 offset:4 ; 4-byte Folded Reload
	scratch_load_dword v41, off, s33 offset:8 ; 4-byte Folded Reload
	;; [unrolled: 1-line block ×3, first 2 shown]
	v_readlane_b32 s30, v43, 32
	v_readlane_b32 s31, v43, 33
	;; [unrolled: 1-line block ×35, first 2 shown]
	s_or_saveexec_b64 s[2:3], -1
	scratch_load_dword v43, off, s33 offset:16 ; 4-byte Folded Reload
	s_mov_b64 exec, s[2:3]
	s_addk_i32 s32, 0xffe0
	s_mov_b32 s33, s0
	s_waitcnt vmcnt(0)
	s_setpc_b64 s[30:31]
.Lfunc_end7:
	.size	_Z42ncclDevFunc_Broadcast_RING_LL_Sum_i8_0_0_2v, .Lfunc_end7-_Z42ncclDevFunc_Broadcast_RING_LL_Sum_i8_0_0_2v
                                        ; -- End function
	.section	.AMDGPU.csdata,"",@progbits
; Function info:
; codeLenInByte = 928
; NumSgprs: 72
; NumVgprs: 64
; NumAgprs: 32
; TotalNumVgprs: 96
; ScratchSize: 72
; MemoryBound: 0
	.text
	.p2align	2                               ; -- Begin function _ZN12_GLOBAL__N_17runRingIa7FuncSumIaE11ProtoSimpleILi1ELi1ELi0ELi2ELi0ELi0EELi0ELi2ELi0EEEviiP15ncclDevWorkColl
	.type	_ZN12_GLOBAL__N_17runRingIa7FuncSumIaE11ProtoSimpleILi1ELi1ELi0ELi2ELi0ELi0EELi0ELi2ELi0EEEviiP15ncclDevWorkColl,@function
_ZN12_GLOBAL__N_17runRingIa7FuncSumIaE11ProtoSimpleILi1ELi1ELi0ELi2ELi0ELi0EELi0ELi2ELi0EEEviiP15ncclDevWorkColl: ; @_ZN12_GLOBAL__N_17runRingIa7FuncSumIaE11ProtoSimpleILi1ELi1ELi0ELi2ELi0ELi0EELi0ELi2ELi0EEEviiP15ncclDevWorkColl
; %bb.0:
	s_waitcnt vmcnt(0) expcnt(0) lgkmcnt(0)
	s_mov_b32 s0, s33
	s_mov_b32 s33, s32
	s_or_saveexec_b64 s[2:3], -1
	scratch_store_dword off, v63, s33 offset:44 ; 4-byte Folded Spill
	s_mov_b64 exec, s[2:3]
	v_writelane_b32 v63, s0, 53
	v_accvgpr_write_b32 a28, v40            ;  Reload Reuse
	s_add_i32 s32, s32, 64
	v_accvgpr_write_b32 a29, v41            ;  Reload Reuse
	v_accvgpr_write_b32 a30, v42            ;  Reload Reuse
	v_accvgpr_write_b32 a31, v43            ;  Reload Reuse
	scratch_store_dword off, v44, s33 offset:40 ; 4-byte Folded Spill
	scratch_store_dword off, v45, s33 offset:36 ; 4-byte Folded Spill
	;; [unrolled: 1-line block ×10, first 2 shown]
	scratch_store_dword off, v62, s33       ; 4-byte Folded Spill
	v_writelane_b32 v63, s34, 0
	v_writelane_b32 v63, s35, 1
	;; [unrolled: 1-line block ×52, first 2 shown]
	s_nop 1
	v_writelane_b32 v63, s31, 52
	s_trap 2
	ds_read_b64 v[4:5], v0
	flat_load_ushort v9, v[2:3] offset:8
	flat_load_dwordx2 v[16:17], v[2:3]
	ds_read_b32 v6, v0
	v_mov_b32_e32 v61, v0
                                        ; implicit-def: $vgpr36_vgpr37
                                        ; implicit-def: $vgpr14_vgpr15
	s_waitcnt lgkmcnt(0)
	flat_load_dwordx2 v[34:35], v[4:5]
                                        ; implicit-def: $vgpr4_vgpr5
	s_waitcnt vmcnt(0)
	v_mov_b32_e32 v8, v17
	v_cmp_ne_u32_sdwa s[0:1], v16, v6 src0_sel:BYTE_0 src1_sel:DWORD
	s_and_saveexec_b64 s[2:3], s[0:1]
	s_xor_b64 s[0:1], exec, s[2:3]
	s_cbranch_execz .LBB8_6
; %bb.1:
	v_not_b32_sdwa v10, v16 dst_sel:DWORD dst_unused:UNUSED_PAD src0_sel:BYTE_0
	v_cmp_ne_u32_sdwa s[2:3], v16, v6 src0_sel:BYTE_1 src1_sel:DWORD
                                        ; implicit-def: $vgpr36_vgpr37
                                        ; implicit-def: $vgpr4_vgpr5
                                        ; implicit-def: $vgpr14_vgpr15
	s_and_saveexec_b64 s[4:5], s[2:3]
	s_xor_b64 s[2:3], exec, s[4:5]
	s_cbranch_execz .LBB8_3
; %bb.2:
	flat_load_dwordx4 v[18:21], v[2:3] offset:72
	flat_load_dwordx2 v[4:5], v[2:3] offset:96
	v_add_u32_e32 v0, v6, v10
	v_ashrrev_i32_e32 v6, 31, v0
                                        ; implicit-def: $vgpr10
	s_waitcnt vmcnt(0) lgkmcnt(0)
	v_mul_lo_u32 v6, v20, v6
	v_mad_u64_u32 v[14:15], s[4:5], v20, v0, v[18:19]
	v_mul_lo_u32 v0, v21, v0
	v_lshrrev_b64 v[36:37], 21, v[4:5]
	v_add3_u32 v15, v0, v15, v6
	v_mov_b64_e32 v[4:5], v[20:21]
.LBB8_3:
	s_andn2_saveexec_b64 s[2:3], s[2:3]
	s_cbranch_execz .LBB8_5
; %bb.4:
	flat_load_dwordx4 v[18:21], v[2:3] offset:72
	flat_load_dwordx4 v[4:7], v[2:3] offset:88
	v_add_u32_sdwa v0, v16, v10 dst_sel:DWORD dst_unused:UNUSED_PAD src0_sel:BYTE_1 src1_sel:DWORD
	s_waitcnt vmcnt(0) lgkmcnt(0)
	v_ashrrev_i32_e32 v6, 31, v0
	v_mul_lo_u32 v6, v20, v6
	v_mad_u64_u32 v[14:15], s[4:5], v20, v0, v[18:19]
	v_mul_lo_u32 v0, v21, v0
	v_add3_u32 v15, v0, v15, v6
	v_lshrrev_b32_e32 v36, 10, v7
.LBB8_5:
	s_or_b64 exec, exec, s[2:3]
.LBB8_6:
	s_andn2_saveexec_b64 s[0:1], s[0:1]
	s_cbranch_execz .LBB8_8
; %bb.7:
	flat_load_dwordx2 v[4:5], v[2:3] offset:72
	flat_load_dwordx2 v[36:37], v[2:3] offset:96
	v_mov_b64_e32 v[14:15], 0
.LBB8_8:
	s_or_b64 exec, exec, s[0:1]
	flat_load_dwordx4 v[10:13], v[2:3] offset:16
	s_brev_b32 s0, 34
	v_and_b32_e32 v0, 0x44000000, v16
	v_cmp_eq_u32_e64 s[16:17], s0, v0
	v_bfe_u32 v30, v8, 1, 30
	s_nop 0
	v_cndmask_b32_e64 v27, v1, 64, s[16:17]
	v_cmp_ge_i32_e32 vcc, v61, v27
	s_and_saveexec_b64 s[0:1], vcc
	s_xor_b64 s[2:3], exec, s[0:1]
	s_cbranch_execz .LBB8_40
; %bb.9:
	s_waitcnt vmcnt(0) lgkmcnt(0)
	v_cmp_ne_u64_e32 vcc, v[12:13], v[10:11]
	v_cmp_eq_u32_e64 s[0:1], v34, v30
	s_and_b64 s[4:5], vcc, s[0:1]
	s_and_saveexec_b64 s[0:1], s[4:5]
	s_cbranch_execz .LBB8_39
; %bb.10:
	v_sub_u32_e32 v25, v61, v27
	v_ashrrev_i32_e32 v0, 31, v25
	v_lshrrev_b32_e32 v0, 26, v0
	v_add_u32_e32 v0, v25, v0
	v_and_b32_e32 v8, 0xffffffc0, v0
	v_sub_u32_e32 v22, v25, v8
	v_lshl_add_u64 v[2:3], v[12:13], 0, v[14:15]
	v_lshl_add_u64 v[6:7], v[10:11], 0, v[14:15]
	v_cmp_gt_i32_e32 vcc, 1, v22
	v_mov_b32_e32 v8, 0
	s_and_saveexec_b64 s[4:5], vcc
; %bb.11:
	v_or_b32_e32 v8, v2, v6
	v_and_b32_e32 v8, 15, v8
	v_cmp_ne_u32_e32 vcc, 0, v8
	s_nop 1
	v_cndmask_b32_e64 v8, 0, 1, vcc
; %bb.12:
	s_or_b64 exec, exec, s[4:5]
	v_ashrrev_i32_e32 v26, 6, v0
	v_sub_u32_e32 v24, v1, v27
	;;#ASMSTART
	;;#ASMEND
	s_nop 0
	v_cmp_ne_u32_e32 vcc, 0, v8
	s_cbranch_vccz .LBB8_14
; %bb.13:
	s_mov_b64 s[6:7], -1
	v_mov_b64_e32 v[0:1], 0
	s_and_b64 exec, exec, s[6:7]
	s_cbranch_execnz .LBB8_31
	s_branch .LBB8_39
.LBB8_14:
	v_ashrrev_i32_e32 v0, 31, v5
	v_lshrrev_b32_e32 v0, 20, v0
	v_mov_b32_e32 v1, 0
	v_lshl_add_u64 v[0:1], v[4:5], 0, v[0:1]
	v_ashrrev_i64 v[0:1], 12, v[0:1]
	v_ashrrev_i32_e32 v9, 31, v26
	v_sub_co_u32_e32 v8, vcc, v0, v26
	s_mov_b64 s[6:7], 0
	s_nop 0
	v_subb_co_u32_e32 v9, vcc, v1, v9, vcc
	v_cmp_lt_i64_e32 vcc, 0, v[8:9]
	s_and_saveexec_b64 s[4:5], vcc
	s_cbranch_execz .LBB8_18
; %bb.15:
	v_ashrrev_i32_e32 v18, 31, v24
	v_lshrrev_b32_e32 v18, 26, v18
	v_add_u32_e32 v18, v24, v18
	v_ashrrev_i32_e32 v18, 6, v18
	v_mov_b32_e32 v19, 0xfffff000
	v_lshlrev_b32_e32 v16, 4, v22
	v_lshl_add_u32 v20, v18, 12, v19
	v_lshl_add_u32 v16, v26, 12, v16
	v_ashrrev_i32_e32 v21, 31, v20
	s_mov_b64 s[10:11], 0x1000
	v_ashrrev_i32_e32 v17, 31, v16
	v_ashrrev_i32_e32 v19, 31, v18
	v_lshl_add_u64 v[20:21], v[20:21], 0, s[10:11]
.LBB8_16:                               ; =>This Inner Loop Header: Depth=1
	v_lshl_add_u64 v[38:39], v[16:17], 0, v[2:3]
	global_load_dwordx4 v[26:29], v[38:39], off nt
	global_load_dwordx4 v[30:33], v[38:39], off offset:1024 nt
	global_load_dwordx4 v[34:37], v[38:39], off offset:2048 nt
	;; [unrolled: 1-line block ×3, first 2 shown]
	v_sub_co_u32_e32 v8, vcc, v8, v18
	v_lshl_add_u64 v[38:39], v[16:17], 0, v[6:7]
	s_nop 0
	v_subb_co_u32_e32 v9, vcc, v9, v19, vcc
	v_cmp_gt_i64_e32 vcc, 1, v[8:9]
	v_lshl_add_u64 v[2:3], v[2:3], 0, v[20:21]
	v_lshl_add_u64 v[6:7], v[6:7], 0, v[20:21]
	s_or_b64 s[6:7], vcc, s[6:7]
	s_waitcnt vmcnt(3)
	global_store_dwordx4 v[38:39], v[26:29], off nt
	s_waitcnt vmcnt(3)
	global_store_dwordx4 v[38:39], v[30:33], off offset:1024 nt
	s_waitcnt vmcnt(3)
	global_store_dwordx4 v[38:39], v[34:37], off offset:2048 nt
	;; [unrolled: 2-line block ×3, first 2 shown]
	s_andn2_b64 exec, exec, s[6:7]
	s_cbranch_execnz .LBB8_16
; %bb.17:
	s_or_b64 exec, exec, s[6:7]
.LBB8_18:
	s_or_b64 exec, exec, s[4:5]
	v_lshlrev_b64 v[16:17], 12, v[0:1]
	v_cmp_ne_u64_e32 vcc, v[4:5], v[16:17]
	s_mov_b64 s[6:7], 0
	v_mov_b64_e32 v[0:1], 0
                                        ; implicit-def: $vgpr25
                                        ; implicit-def: $vgpr26
	s_and_saveexec_b64 s[4:5], vcc
	s_cbranch_execz .LBB8_30
; %bb.19:
	v_sub_co_u32_e32 v0, vcc, v4, v16
	v_mov_b32_e32 v21, 0
	s_nop 0
	v_subb_co_u32_e32 v1, vcc, v5, v17, vcc
	v_ashrrev_i32_e32 v2, 31, v1
	v_lshrrev_b32_e32 v20, 22, v2
	v_lshl_add_u64 v[2:3], v[0:1], 0, v[20:21]
	v_ashrrev_i64 v[18:19], 10, v[2:3]
	v_and_b32_e32 v2, 0xfffffc00, v2
	v_lshl_add_u64 v[6:7], v[2:3], 0, v[16:17]
	v_sub_co_u32_e32 v2, vcc, v0, v2
	s_nop 1
	v_subb_co_u32_e32 v3, vcc, v1, v3, vcc
	v_cmp_lt_i64_e32 vcc, 15, v[2:3]
	s_and_saveexec_b64 s[6:7], vcc
; %bb.20:
	v_and_b32_e32 v20, 15, v4
	v_sub_co_u32_e32 v2, vcc, v2, v20
	v_lshl_add_u64 v[18:19], v[18:19], 0, 1
	s_nop 0
	v_subbrev_co_u32_e32 v3, vcc, 0, v3, vcc
	v_lshl_add_u64 v[6:7], v[2:3], 0, v[6:7]
	v_mov_b64_e32 v[2:3], v[20:21]
; %bb.21:
	s_or_b64 exec, exec, s[6:7]
	v_lshlrev_b32_e32 v4, 6, v8
	v_sub_u32_e32 v4, v22, v4
	v_ashrrev_i32_e32 v5, 31, v4
	v_lshrrev_b32_e32 v5, 26, v5
	v_add_u32_e32 v5, v4, v5
	v_ashrrev_i32_e32 v8, 6, v5
	v_and_b32_e32 v5, 0xffffffc0, v5
	v_sub_u32_e32 v27, v4, v5
	v_lshlrev_b32_e32 v4, 4, v27
	v_lshl_add_u32 v22, v8, 10, v4
	v_ashrrev_i32_e32 v23, 31, v22
	v_sub_co_u32_e32 v0, vcc, v0, v22
	v_ashrrev_i32_e32 v5, 31, v8
	s_nop 0
	v_subb_co_u32_e32 v1, vcc, v1, v23, vcc
	v_sub_co_u32_e32 v4, vcc, v18, v8
	s_nop 1
	v_subb_co_u32_e32 v5, vcc, v19, v5, vcc
	v_cmp_lt_i64_e32 vcc, 15, v[0:1]
	s_and_saveexec_b64 s[6:7], vcc
	s_cbranch_execz .LBB8_25
; %bb.22:
	v_ashrrev_i32_e32 v8, 31, v24
	v_lshrrev_b32_e32 v8, 26, v8
	v_add_u32_e32 v8, v24, v8
	v_ashrrev_i32_e32 v8, 6, v8
	v_lshlrev_b32_e32 v18, 10, v8
	v_add_u32_e32 v20, 0xfffffc00, v18
	v_ashrrev_i32_e32 v21, 31, v20
	s_mov_b64 s[10:11], 0x400
	v_lshl_add_u64 v[16:17], v[14:15], 0, v[16:17]
	v_lshl_add_u64 v[20:21], v[20:21], 0, s[10:11]
	v_ashrrev_i32_e32 v9, 31, v18
	v_ashrrev_i32_e32 v19, 31, v8
	v_lshl_add_u64 v[16:17], v[16:17], 0, v[22:23]
	s_mov_b64 s[10:11], 0
.LBB8_23:                               ; =>This Inner Loop Header: Depth=1
	v_lshl_add_u64 v[22:23], v[12:13], 0, v[16:17]
	global_load_dwordx4 v[28:31], v[22:23], off nt
	v_sub_co_u32_e32 v0, vcc, v0, v18
	v_lshl_add_u64 v[22:23], v[10:11], 0, v[16:17]
	s_nop 0
	v_subb_co_u32_e32 v1, vcc, v1, v9, vcc
	v_sub_co_u32_e32 v4, vcc, v4, v8
	v_lshl_add_u64 v[16:17], v[16:17], 0, v[20:21]
	s_nop 0
	v_subb_co_u32_e32 v5, vcc, v5, v19, vcc
	v_cmp_gt_i64_e32 vcc, 16, v[0:1]
	s_or_b64 s[10:11], vcc, s[10:11]
	s_waitcnt vmcnt(0)
	global_store_dwordx4 v[22:23], v[28:31], off nt
	s_andn2_b64 exec, exec, s[10:11]
	s_cbranch_execnz .LBB8_23
; %bb.24:
	s_or_b64 exec, exec, s[10:11]
.LBB8_25:
	s_or_b64 exec, exec, s[6:7]
	s_mov_b64 s[6:7], 0
	v_cmp_lt_i64_e32 vcc, 0, v[4:5]
	s_and_saveexec_b64 s[10:11], vcc
; %bb.26:
	v_ashrrev_i32_e32 v0, 31, v24
	v_lshrrev_b32_e32 v0, 26, v0
	v_add_u32_e32 v0, v24, v0
	v_ashrrev_i32_e32 v0, 6, v0
	v_sub_co_u32_e32 v4, vcc, v4, v0
; %bb.27:
	s_or_b64 exec, exec, s[10:11]
	v_cmp_ne_u64_e32 vcc, 0, v[2:3]
	v_mov_b64_e32 v[0:1], 0
                                        ; implicit-def: $vgpr25
                                        ; implicit-def: $vgpr26
	s_and_saveexec_b64 s[10:11], vcc
; %bb.28:
	v_lshlrev_b32_e32 v0, 6, v4
	v_sub_u32_e32 v25, v27, v0
	v_ashrrev_i32_e32 v0, 31, v25
	v_lshrrev_b32_e32 v0, 26, v0
	v_add_u32_e32 v0, v25, v0
	s_mov_b64 s[6:7], exec
	v_ashrrev_i32_e32 v26, 6, v0
	v_mov_b64_e32 v[0:1], v[6:7]
; %bb.29:
	s_or_b64 exec, exec, s[10:11]
	s_and_b64 s[6:7], s[6:7], exec
	v_mov_b64_e32 v[4:5], v[2:3]
.LBB8_30:
	s_or_b64 exec, exec, s[4:5]
	s_and_b64 exec, exec, s[6:7]
	s_cbranch_execz .LBB8_39
.LBB8_31:
	v_ashrrev_i32_e32 v2, 31, v5
	v_lshrrev_b32_e32 v2, 22, v2
	v_mov_b32_e32 v3, 0
	v_lshl_add_u64 v[2:3], v[4:5], 0, v[2:3]
	v_ashrrev_i64 v[6:7], 10, v[2:3]
	v_ashrrev_i32_e32 v3, 31, v26
	v_sub_co_u32_e32 v2, vcc, v6, v26
	s_mov_b64 s[6:7], 0
	s_nop 0
	v_subb_co_u32_e32 v3, vcc, v7, v3, vcc
	v_cmp_lt_i64_e32 vcc, 0, v[2:3]
	s_and_saveexec_b64 s[4:5], vcc
	s_cbranch_execz .LBB8_35
; %bb.32:
	v_ashrrev_i32_e32 v8, 31, v25
	v_ashrrev_i32_e32 v16, 31, v24
	v_lshrrev_b32_e32 v8, 26, v8
	v_lshrrev_b32_e32 v16, 26, v16
	v_add_u32_e32 v8, v25, v8
	v_add_u32_e32 v16, v24, v16
	v_and_b32_e32 v8, 0xffffffc0, v8
	v_ashrrev_i32_e32 v16, 6, v16
	v_mov_b32_e32 v17, 0xfffffc00
	v_sub_u32_e32 v8, v25, v8
	v_lshl_add_u32 v18, v16, 10, v17
	v_lshl_add_u32 v8, v26, 10, v8
	v_ashrrev_i32_e32 v19, 31, v18
	s_mov_b64 s[10:11], 0x400
	v_lshl_add_u64 v[22:23], v[14:15], 0, v[0:1]
	v_ashrrev_i32_e32 v9, 31, v8
	v_ashrrev_i32_e32 v17, 31, v16
	v_lshl_add_u64 v[18:19], v[18:19], 0, s[10:11]
	v_lshl_add_u64 v[20:21], v[22:23], 0, v[12:13]
	;; [unrolled: 1-line block ×3, first 2 shown]
.LBB8_33:                               ; =>This Inner Loop Header: Depth=1
	v_lshl_add_u64 v[28:29], v[8:9], 0, v[20:21]
	flat_load_ubyte v27, v[28:29] nt
	flat_load_ubyte v30, v[28:29] offset:64 nt
	flat_load_ubyte v31, v[28:29] offset:128 nt
	;; [unrolled: 1-line block ×15, first 2 shown]
	v_sub_co_u32_e32 v2, vcc, v2, v16
	v_lshl_add_u64 v[28:29], v[8:9], 0, v[22:23]
	s_nop 0
	v_subb_co_u32_e32 v3, vcc, v3, v17, vcc
	v_cmp_gt_i64_e32 vcc, 1, v[2:3]
	v_lshl_add_u64 v[20:21], v[20:21], 0, v[18:19]
	v_lshl_add_u64 v[22:23], v[22:23], 0, v[18:19]
	s_or_b64 s[6:7], vcc, s[6:7]
	s_waitcnt vmcnt(0) lgkmcnt(0)
	flat_store_byte v[28:29], v27 nt
	flat_store_byte v[28:29], v30 offset:64 nt
	flat_store_byte v[28:29], v31 offset:128 nt
	;; [unrolled: 1-line block ×15, first 2 shown]
	s_andn2_b64 exec, exec, s[6:7]
	s_cbranch_execnz .LBB8_33
; %bb.34:
	s_or_b64 exec, exec, s[6:7]
.LBB8_35:
	s_or_b64 exec, exec, s[4:5]
	v_lshlrev_b64 v[6:7], 10, v[6:7]
	v_cmp_ne_u64_e32 vcc, v[4:5], v[6:7]
	s_and_b64 exec, exec, vcc
	s_cbranch_execz .LBB8_39
; %bb.36:
	v_lshlrev_b32_e32 v3, 6, v26
	v_sub_u32_e32 v3, v25, v3
	v_lshlrev_b32_e32 v2, 6, v2
	v_sub_u32_e32 v16, v3, v2
	v_ashrrev_i32_e32 v17, 31, v16
	v_lshl_add_u64 v[2:3], v[6:7], 0, v[16:17]
	v_sub_co_u32_e32 v2, vcc, v4, v2
	s_mov_b64 s[4:5], 0
	s_nop 0
	v_subb_co_u32_e32 v3, vcc, v5, v3, vcc
	v_cmp_lt_i64_e32 vcc, 0, v[2:3]
	s_and_b64 exec, exec, vcc
	s_cbranch_execz .LBB8_39
; %bb.37:
	v_ashrrev_i32_e32 v4, 31, v24
	v_lshrrev_b32_e32 v4, 26, v4
	v_add_u32_e32 v4, v24, v4
	v_and_b32_e32 v4, 0xffffffc0, v4
	v_subrev_u32_e32 v8, 64, v4
	v_lshl_add_u64 v[0:1], v[14:15], 0, v[0:1]
	v_ashrrev_i32_e32 v9, 31, v8
	v_lshl_add_u64 v[0:1], v[0:1], 0, v[6:7]
	v_lshl_add_u64 v[8:9], v[8:9], 0, 64
	v_ashrrev_i32_e32 v5, 31, v4
	v_lshl_add_u64 v[0:1], v[0:1], 0, v[16:17]
.LBB8_38:                               ; =>This Inner Loop Header: Depth=1
	v_lshl_add_u64 v[6:7], v[12:13], 0, v[0:1]
	flat_load_ubyte v14, v[6:7] nt
	v_sub_co_u32_e32 v2, vcc, v2, v4
	v_lshl_add_u64 v[6:7], v[10:11], 0, v[0:1]
	s_nop 0
	v_subb_co_u32_e32 v3, vcc, v3, v5, vcc
	v_cmp_gt_i64_e32 vcc, 1, v[2:3]
	v_lshl_add_u64 v[0:1], v[0:1], 0, v[8:9]
	s_or_b64 s[4:5], vcc, s[4:5]
	s_waitcnt vmcnt(0) lgkmcnt(0)
	flat_store_byte v[6:7], v14 nt
	s_andn2_b64 exec, exec, s[4:5]
	s_cbranch_execnz .LBB8_38
.LBB8_39:
	s_or_b64 exec, exec, s[0:1]
                                        ; implicit-def: $vgpr34_vgpr35
                                        ; implicit-def: $vgpr14_vgpr15
                                        ; implicit-def: $vgpr4_vgpr5
                                        ; implicit-def: $vgpr36_vgpr37
                                        ; implicit-def: $vgpr30
                                        ; implicit-def: $vgpr27
                                        ; implicit-def: $vgpr61
                                        ; implicit-def: $vgpr31
                                        ; implicit-def: $vgpr12_vgpr13
                                        ; implicit-def: $vgpr8_vgpr9
                                        ; implicit-def: $vgpr2_vgpr3
.LBB8_40:
	s_andn2_saveexec_b64 s[38:39], s[2:3]
	s_cbranch_execz .LBB8_1035
; %bb.41:
	s_trap 2
	ds_read_b64 v[0:1], v0
	s_waitcnt lgkmcnt(0)
	v_cmp_ne_u32_e32 vcc, -1, v0
	s_nop 1
	v_cndmask_b32_e64 v23, 0, 1, vcc
	v_cmp_ne_u32_e32 vcc, -1, v1
	s_nop 1
	v_addc_co_u32_e64 v1, s[0:1], 0, v23, vcc
	v_lshlrev_b32_e32 v0, 1, v1
	v_cmp_le_i32_e64 s[0:1], v0, v27
	s_and_saveexec_b64 s[2:3], s[0:1]
	s_xor_b64 s[40:41], exec, s[2:3]
	s_cbranch_execz .LBB8_1032
; %bb.42:
	flat_load_dwordx2 v[28:29], v[2:3] offset:104
	s_trap 2
	s_load_dword s0, s[8:9], 0x0
	v_mov_b32_e32 v0, 0
	v_mov_b32_e32 v62, 4
	s_waitcnt lgkmcnt(0)
	s_cmp_lt_u32 s12, s0
	s_cselect_b32 s0, 12, 18
	s_add_u32 s0, s8, s0
	s_addc_u32 s1, s9, 0
	global_load_ushort v22, v0, s[0:1]
	ds_read_b32 v0, v0
	v_cmp_ge_i32_e64 s[0:1], v61, v23
	s_waitcnt lgkmcnt(0)
	v_readfirstlane_b32 s18, v0
	s_and_saveexec_b64 s[2:3], s[0:1]
	s_cbranch_execz .LBB8_52
; %bb.43:
	v_cmp_le_u32_e64 s[0:1], v1, v61
                                        ; implicit-def: $vgpr62
	s_and_saveexec_b64 s[4:5], s[0:1]
	s_xor_b64 s[0:1], exec, s[4:5]
	s_cbranch_execz .LBB8_49
; %bb.44:
	v_cndmask_b32_e64 v0, 0, 1, vcc
	v_sub_u32_e32 v0, v27, v0
	v_cmp_ge_u32_e32 vcc, v61, v0
                                        ; implicit-def: $sgpr6
	s_and_saveexec_b64 s[4:5], vcc
	s_xor_b64 s[4:5], exec, s[4:5]
; %bb.45:
	s_mov_b32 s6, 16
                                        ; implicit-def: $vgpr1
; %bb.46:
	s_or_saveexec_b64 s[4:5], s[4:5]
	v_mov_b32_e32 v62, s6
	s_xor_b64 exec, exec, s[4:5]
; %bb.47:
	v_sub_u32_e32 v0, v27, v1
	v_cmp_ge_i32_e32 vcc, v61, v0
	s_nop 1
	v_cndmask_b32_e64 v0, 0, 1, vcc
	v_lshlrev_b32_e32 v62, 5, v0
; %bb.48:
	s_or_b64 exec, exec, s[4:5]
.LBB8_49:
	s_andn2_saveexec_b64 s[0:1], s[0:1]
; %bb.50:
	v_mov_b32_e32 v62, 8
; %bb.51:
	s_or_b64 exec, exec, s[0:1]
.LBB8_52:
	s_or_b64 exec, exec, s[2:3]
	v_and_b32_e32 v0, 36, v62
	v_cmp_ne_u32_e32 vcc, 0, v0
	v_mov_b32_e32 v38, -1
	s_and_saveexec_b64 s[0:1], vcc
	s_cbranch_execz .LBB8_54
; %bb.53:
	s_trap 2
	ds_read_b32 v38, v0
.LBB8_54:
	s_or_b64 exec, exec, s[0:1]
	v_and_b32_e32 v0, 24, v62
	v_cmp_ne_u32_e64 s[0:1], 0, v0
	s_and_saveexec_b64 s[2:3], s[0:1]
	s_cbranch_execz .LBB8_56
; %bb.55:
	s_trap 2
	s_waitcnt lgkmcnt(0)
	ds_read_b32 v38, v0
.LBB8_56:
	s_or_b64 exec, exec, s[2:3]
	v_lshrrev_b64 v[0:1], 31, v[8:9]
	v_mov_b64_e32 v[24:25], 0
	v_and_b32_e32 v1, 3, v0
	s_waitcnt lgkmcnt(0)
	v_ashrrev_i32_e32 v39, 31, v38
	v_mov_b64_e32 v[6:7], v[24:25]
                                        ; implicit-def: $agpr4_agpr5
                                        ; implicit-def: $vgpr54
                                        ; implicit-def: $vgpr40_vgpr41
                                        ; implicit-def: $vgpr32_vgpr33
                                        ; implicit-def: $vgpr20_vgpr21
	s_and_saveexec_b64 s[0:1], vcc
	s_cbranch_execz .LBB8_66
; %bb.57:
	s_trap 2
	ds_read_b64 v[6:7], v0
	v_and_b32_e32 v0, 0xffff, v1
	s_movk_i32 s2, 0xa8
                                        ; implicit-def: $agpr4_agpr5
	s_waitcnt lgkmcnt(0)
	v_lshl_add_u64 v[6:7], v[38:39], 3, v[6:7]
	flat_load_dwordx2 v[6:7], v[6:7]
	s_waitcnt vmcnt(0) lgkmcnt(0)
	v_mad_u64_u32 v[6:7], s[2:3], v0, s2, v[6:7]
	flat_load_dword v0, v[6:7] offset:640
	s_mov_b64 s[2:3], 0x1f8
	v_lshl_add_u64 v[24:25], v[6:7], 0, s[2:3]
	s_waitcnt vmcnt(0) lgkmcnt(0)
	v_cmp_eq_u32_e32 vcc, 1, v0
	s_and_saveexec_b64 s[2:3], vcc
	s_cbranch_execz .LBB8_59
; %bb.58:
	flat_load_dwordx2 v[8:9], v[24:25] offset:144
	v_or_b32_e32 v62, 0x2000, v62
	s_waitcnt vmcnt(0) lgkmcnt(0)
	flat_load_dwordx2 v[6:7], v[8:9]
	s_trap 2
	v_accvgpr_write_b32 a4, v8
	v_accvgpr_write_b32 a5, v9
	s_waitcnt vmcnt(0) lgkmcnt(0)
	ds_write_b64 v0, v[6:7]
	flat_load_dwordx2 v[6:7], v[8:9] offset:8
	s_waitcnt vmcnt(0) lgkmcnt(0)
	ds_write_b64 v0, v[6:7]
	flat_load_dwordx2 v[6:7], v[8:9] offset:16
	s_waitcnt vmcnt(0) lgkmcnt(0)
	ds_write_b64 v0, v[6:7]
.LBB8_59:
	s_or_b64 exec, exec, s[2:3]
	flat_load_dwordx2 v[8:9], v[24:25] offset:104
	v_and_b32_e32 v0, 32, v62
	v_cmp_ne_u32_e32 vcc, 0, v0
                                        ; implicit-def: $vgpr20_vgpr21
	s_and_saveexec_b64 s[2:3], vcc
	s_cbranch_execz .LBB8_61
; %bb.60:
	flat_load_dwordx2 v[20:21], v[24:25] offset:56
	s_waitcnt vmcnt(0) lgkmcnt(0)
	flat_store_dwordx2 v[20:21], v[8:9] sc0 sc1
.LBB8_61:
	s_or_b64 exec, exec, s[2:3]
	v_and_b32_e32 v0, 4, v62
	v_cmp_ne_u32_e32 vcc, 0, v0
	v_mov_b64_e32 v[6:7], 0
                                        ; implicit-def: $vgpr54
                                        ; implicit-def: $vgpr40_vgpr41
                                        ; implicit-def: $vgpr32_vgpr33
	s_and_saveexec_b64 s[2:3], vcc
	s_cbranch_execz .LBB8_65
; %bb.62:
	v_and_b32_e32 v0, 0x800, v62
	v_cmp_eq_u32_e32 vcc, 0, v0
	s_and_saveexec_b64 s[4:5], vcc
	s_cbranch_execz .LBB8_64
; %bb.63:
	s_trap 2
	ds_write_b64 v0, v[24:25]
.LBB8_64:
	s_or_b64 exec, exec, s[4:5]
	flat_load_dwordx2 v[20:21], v[24:25] offset:48
	v_or_b32_e32 v0, 0x100, v62
	s_waitcnt vmcnt(0) lgkmcnt(0)
	flat_load_dwordx2 v[32:33], v[20:21] sc0 sc1
	flat_load_dwordx2 v[6:7], v[24:25] offset:96
	flat_load_dword v54, v[24:25] offset:72
	flat_load_dwordx2 v[40:41], v[24:25] offset:16
	s_waitcnt vmcnt(0) lgkmcnt(0)
	v_cmp_eq_u64_e32 vcc, 0, v[6:7]
	s_nop 1
	v_cndmask_b32_e32 v62, v0, v62, vcc
.LBB8_65:
	s_or_b64 exec, exec, s[2:3]
.LBB8_66:
	s_or_b64 exec, exec, s[0:1]
	v_and_b32_e32 v0, 24, v62
	v_cmp_ne_u32_e32 vcc, 0, v0
                                        ; implicit-def: $vgpr52_vgpr53
	s_and_saveexec_b64 s[0:1], vcc
	s_cbranch_execz .LBB8_74
; %bb.67:
	s_trap 2
	ds_read_b64 v[6:7], v0
	v_and_b32_e32 v0, 0xffff, v1
	s_movk_i32 s2, 0xa8
                                        ; implicit-def: $vgpr52_vgpr53
	s_waitcnt lgkmcnt(0)
	v_lshl_add_u64 v[6:7], v[38:39], 3, v[6:7]
	flat_load_dwordx2 v[6:7], v[6:7]
	s_waitcnt vmcnt(0) lgkmcnt(0)
	v_mad_u64_u32 v[24:25], s[2:3], v0, s2, v[6:7]
	flat_load_dwordx4 v[6:9], v[24:25] offset:96
	v_or_b32_e32 v0, 0x100, v62
	s_waitcnt vmcnt(0) lgkmcnt(0)
	v_cmp_eq_u64_e32 vcc, 0, v[6:7]
	s_nop 1
	v_cndmask_b32_e32 v62, v0, v62, vcc
	v_and_b32_e32 v0, 16, v62
	v_cmp_ne_u32_e32 vcc, 0, v0
	s_and_saveexec_b64 s[2:3], vcc
	s_cbranch_execz .LBB8_69
; %bb.68:
	flat_load_dwordx2 v[52:53], v[24:25] offset:120
	flat_load_dwordx2 v[20:21], v[24:25] offset:48
	;; [unrolled: 1-line block ×3, first 2 shown]
.LBB8_69:
	s_or_b64 exec, exec, s[2:3]
	v_and_b32_e32 v0, 8, v62
	v_cmp_ne_u32_e32 vcc, 0, v0
	s_and_saveexec_b64 s[2:3], vcc
	s_cbranch_execz .LBB8_73
; %bb.70:
	v_and_b32_e32 v0, 0x800, v62
	v_cmp_eq_u32_e32 vcc, 0, v0
	s_and_saveexec_b64 s[4:5], vcc
	s_cbranch_execz .LBB8_72
; %bb.71:
	s_trap 2
	ds_write_b64 v0, v[24:25]
.LBB8_72:
	s_or_b64 exec, exec, s[4:5]
	s_waitcnt vmcnt(0) lgkmcnt(0)
	flat_load_dwordx2 v[20:21], v[24:25] offset:56
	s_waitcnt vmcnt(0) lgkmcnt(0)
	flat_load_dwordx2 v[32:33], v[20:21] sc0 sc1
	flat_load_dword v54, v[24:25] offset:72
	flat_load_dwordx2 v[40:41], v[24:25] offset:16
.LBB8_73:
	s_or_b64 exec, exec, s[2:3]
.LBB8_74:
	s_or_b64 exec, exec, s[0:1]
	v_cmp_eq_u32_e64 s[0:1], 0, v61
	s_and_saveexec_b64 s[2:3], s[0:1]
	s_cbranch_execz .LBB8_76
; %bb.75:
	flat_load_dwordx2 v[0:1], v[2:3] offset:32
	s_waitcnt vmcnt(0)
	v_mov_b32_e32 v16, v12
	v_mov_b32_e32 v17, v13
	;; [unrolled: 1-line block ×4, first 2 shown]
	s_waitcnt lgkmcnt(0)
	ds_write2_b64 v0, v[16:17], v[18:19] offset1:1
	s_trap 2
	ds_write_b64 v0, v[0:1]
	ds_write_b64 v0, v[28:29]
.LBB8_76:
	s_or_b64 exec, exec, s[2:3]
	s_mov_b64 s[44:45], 0
	s_waitcnt vmcnt(0)
	v_cmp_ne_u64_e32 vcc, 0, v[4:5]
	v_mov_b64_e32 v[28:29], 0
	s_and_saveexec_b64 s[42:43], vcc
	s_cbranch_execz .LBB8_996
; %bb.77:
	flat_load_dword v2, v[2:3] offset:4
	v_accvgpr_write_b32 a6, v24
	v_accvgpr_write_b32 a7, v25
	v_lshlrev_b32_e32 v0, 9, v36
	v_ashrrev_i32_e32 v24, 31, v61
	v_cvt_f64_u32_e32 v[16:17], 0
	v_cmp_ne_u32_e64 s[2:3], v34, v30
	s_waitcnt lgkmcnt(0)
	v_ashrrev_i32_e32 v1, 31, v54
	v_accvgpr_write_b32 a3, v22
	v_cmp_ne_u32_sdwa s[46:47], v27, v22 src0_sel:DWORD src1_sel:WORD_0
	v_and_b32_e32 v22, 63, v31
	v_lshrrev_b32_e32 v34, 6, v27
	v_mov_b32_e32 v25, 0xfffff800
	v_cmp_ne_u64_e32 vcc, v[12:13], v[10:11]
	v_and_b32_e32 v18, 0x3ffffe00, v0
	v_lshrrev_b32_e32 v11, 26, v24
	v_cmp_ne_u32_e64 s[4:5], v35, v30
	v_accvgpr_write_b32 a9, v1
	v_and_b32_e32 v30, 0xffffffc0, v27
	v_mov_b32_e32 v26, 0xfffff000
	s_xor_b64 s[24:25], s[16:17], -1
	v_ldexp_f64 v[0:1], v[16:17], 32
	v_cmp_eq_u32_e64 s[16:17], 0, v22
	v_lshl_add_u32 v10, v34, 11, v25
	v_cvt_f64_u32_e32 v[16:17], v18
	v_add_u32_e32 v22, v61, v11
	s_mov_b64 s[20:21], 0x800
	v_lshlrev_b32_e32 v55, 10, v34
	v_subrev_u32_e32 v38, 64, v30
	v_lshl_add_u32 v12, v34, 12, v26
	v_ashrrev_i32_e32 v11, 31, v10
	v_add_f64 v[48:49], v[0:1], v[16:17]
	v_ashrrev_i32_e32 v17, 6, v22
	v_and_b32_e32 v16, 0xffffffc0, v22
	s_mov_b64 s[22:23], 0x1000
	v_add_u32_e32 v24, 0xfffffc00, v55
	v_ashrrev_i32_e32 v39, 31, v38
	v_ashrrev_i32_e32 v13, 31, v12
	v_lshl_add_u64 v[56:57], v[10:11], 0, s[20:21]
	v_sub_u32_e32 v11, v61, v16
	v_lshlrev_b32_e32 v10, 11, v17
	s_ashr_i32 s19, s18, 31
	s_mov_b64 s[48:49], 0x400
	v_ashrrev_i32_e32 v25, 31, v24
	v_lshl_add_u64 v[0:1], v[38:39], 0, 64
	v_lshl_add_u64 v[42:43], v[12:13], 0, s[22:23]
	v_accvgpr_write_b32 a18, v24
	v_lshl_add_u32 v12, v11, 4, v10
	s_lshr_b32 s19, s19, 24
	v_accvgpr_write_b32 a19, v25
	v_lshl_add_u64 v[44:45], v[24:25], 0, s[48:49]
	v_mov_b64_e32 v[24:25], v[0:1]
	v_ashrrev_i32_e32 v13, 31, v12
	v_add_u32_e32 v26, v12, v10
	v_mov_b32_e32 v3, 0
	v_cmp_eq_u32_e64 s[6:7], 64, v27
	v_cmp_ne_u32_e64 s[10:11], 64, v27
	v_accvgpr_write_b32 a1, v27
	v_mov_b64_e32 v[36:37], 0
	s_and_b64 s[52:53], s[24:25], vcc
	s_add_i32 s18, s18, s19
	v_accvgpr_write_b32 a25, v13
	v_ashrrev_i32_e32 v27, 31, v26
	v_accvgpr_write_b32 a10, v40
	v_accvgpr_write_b32 a12, v52
	;; [unrolled: 1-line block ×6, first 2 shown]
	s_movk_i32 s80, 0xffc0
	v_cmp_eq_u64_e64 s[12:13], 0, v[52:53]
	v_cmp_ne_u64_e64 s[14:15], 0, v[52:53]
	s_movk_i32 s81, 0x270e
	s_movk_i32 s82, 0x108
	v_mov_b32_e32 v60, 1
	s_mov_b64 s[50:51], 0x3c0
	v_mov_b32_e32 v19, v3
	v_mov_b32_e32 v35, v3
	s_ashr_i32 s83, s18, 8
	v_cmp_lt_i32_e64 s[18:19], v11, v23
	s_waitcnt vmcnt(0)
	v_and_b32_e32 v2, 1, v2
	v_cmp_eq_u32_e64 s[24:25], 1, v2
	v_cmp_le_i32_e64 s[20:21], v11, v23
	v_mov_b32_e32 v23, v17
	v_accvgpr_write_b32 a23, v11
	v_cmp_gt_i32_e64 s[22:23], 1, v11
	v_accvgpr_write_b32 a24, v12
	s_xor_b64 s[54:55], s[24:25], -1
	v_mov_b64_e32 v[28:29], v[36:37]
	v_accvgpr_write_b32 a2, v61
	v_accvgpr_write_b32 a8, v54
	;; [unrolled: 1-line block ×9, first 2 shown]
	v_mov_b64_e32 v[0:1], v[26:27]
	v_accvgpr_write_b32 a26, v24
	s_trap 2
	s_branch .LBB8_79
.LBB8_78:                               ;   in Loop: Header=BB8_79 Depth=1
	s_or_b64 exec, exec, s[26:27]
	v_lshl_add_u64 v[36:37], v[36:37], 0, v[18:19]
	v_cmp_ge_u64_e32 vcc, v[36:37], v[4:5]
	s_or_b64 s[44:45], vcc, s[44:45]
	s_andn2_b64 exec, exec, s[44:45]
	s_cbranch_execz .LBB8_995
.LBB8_79:                               ; =>This Loop Header: Depth=1
                                        ;     Child Loop BB8_98 Depth 2
                                        ;     Child Loop BB8_133 Depth 2
	;; [unrolled: 1-line block ×9, first 2 shown]
                                        ;       Child Loop BB8_221 Depth 3
                                        ;     Child Loop BB8_231 Depth 2
                                        ;     Child Loop BB8_236 Depth 2
                                        ;       Child Loop BB8_237 Depth 3
                                        ;     Child Loop BB8_282 Depth 2
                                        ;     Child Loop BB8_389 Depth 2
	;; [unrolled: 1-line block ×26, first 2 shown]
                                        ;       Child Loop BB8_308 Depth 3
                                        ;     Child Loop BB8_318 Depth 2
                                        ;     Child Loop BB8_323 Depth 2
                                        ;       Child Loop BB8_324 Depth 3
                                        ;     Child Loop BB8_370 Depth 2
                                        ;     Child Loop BB8_408 Depth 2
	;; [unrolled: 1-line block ×17, first 2 shown]
	v_sub_co_u32_e32 v2, vcc, v4, v36
	v_cvt_f64_u32_e32 v[16:17], v2
	s_nop 0
	v_subb_co_u32_e32 v12, vcc, v5, v37, vcc
	v_cvt_f64_u32_e32 v[12:13], v12
	v_ldexp_f64 v[12:13], v[12:13], 32
	v_add_f64 v[12:13], v[12:13], v[16:17]
	v_max_f64 v[16:17], v[48:49], v[48:49]
	v_min_f64 v[12:13], v[16:17], v[12:13]
	v_cvt_i32_f64_e32 v2, v[12:13]
	v_max_i32_e32 v31, 0, v2
	v_add_u32_e32 v12, 15, v31
	v_ashrrev_i32_e32 v13, 31, v12
	v_lshrrev_b32_e32 v13, 28, v13
	v_add_u32_e32 v12, v12, v13
	v_and_b32_e32 v12, -16, v12
	v_lshl_add_u64 v[10:11], v[36:37], 0, v[14:15]
	v_max_i32_e32 v58, s83, v12
	v_cmp_gt_i32_e64 s[26:27], 1, v2
	v_cmp_lt_i32_e64 s[28:29], 0, v2
	s_mov_b64 s[56:57], 0
	s_and_saveexec_b64 vcc, s[2:3]
	s_xor_b64 s[58:59], exec, vcc
	s_cbranch_execz .LBB8_87
; %bb.80:                               ;   in Loop: Header=BB8_79 Depth=1
	s_mov_b64 s[34:35], 0
	s_and_saveexec_b64 vcc, s[4:5]
	s_xor_b64 s[56:57], exec, vcc
	s_cbranch_execz .LBB8_564
; %bb.81:                               ;   in Loop: Header=BB8_79 Depth=1
	v_mov_b32_e32 v12, 0
	s_and_saveexec_b64 s[60:61], s[28:29]
	s_cbranch_execz .LBB8_424
; %bb.82:                               ;   in Loop: Header=BB8_79 Depth=1
	s_and_saveexec_b64 s[30:31], s[0:1]
	s_cbranch_execz .LBB8_84
; %bb.83:                               ;   in Loop: Header=BB8_79 Depth=1
	s_trap 2
	ds_read_b128 v[24:27], v0
	s_waitcnt lgkmcnt(0)
	v_lshl_add_u64 v[12:13], v[24:25], 0, v[10:11]
	v_accvgpr_read_b32 v24, a26
	v_lshl_add_u64 v[10:11], v[26:27], 0, v[10:11]
	v_cmp_ne_u64_e32 vcc, 0, v[26:27]
	v_accvgpr_read_b32 v25, a27
	v_mov_b64_e32 v[26:27], v[0:1]
	v_cndmask_b32_e32 v11, 0, v11, vcc
	v_cndmask_b32_e32 v10, 0, v10, vcc
	ds_write_b64 v0, v[12:13]
	ds_write_b64 v0, v[10:11]
.LBB8_84:                               ;   in Loop: Header=BB8_79 Depth=1
	s_or_b64 exec, exec, s[30:31]
	v_and_b32_e32 v2, 12, v62
	v_cmp_ne_u32_e32 vcc, 0, v2
	s_mov_b64 s[34:35], -1
	s_and_saveexec_b64 s[30:31], vcc
	s_cbranch_execz .LBB8_111
; %bb.85:                               ;   in Loop: Header=BB8_79 Depth=1
	v_and_b32_e32 v2, 8, v62
	v_lshl_add_u64 v[12:13], v[32:33], 0, v[2:3]
	v_lshl_add_u64 v[10:11], v[8:9], 0, 1
	v_cmp_lt_u64_e32 vcc, v[12:13], v[10:11]
	v_mov_b32_e32 v12, 1
	s_and_saveexec_b64 s[34:35], vcc
	s_cbranch_execz .LBB8_110
; %bb.86:                               ;   in Loop: Header=BB8_79 Depth=1
	s_mov_b64 s[36:37], 0
	v_mov_b32_e32 v12, 0
                                        ; implicit-def: $sgpr62_sgpr63
	s_branch .LBB8_98
.LBB8_87:                               ;   in Loop: Header=BB8_79 Depth=1
	s_andn2_saveexec_b64 s[58:59], s[58:59]
	s_cbranch_execz .LBB8_993
.LBB8_88:                               ;   in Loop: Header=BB8_79 Depth=1
	s_mov_b64 s[34:35], 0
	s_mov_b64 s[30:31], s[56:57]
	s_and_saveexec_b64 vcc, s[52:53]
	s_xor_b64 s[60:61], exec, vcc
	s_cbranch_execz .LBB8_613
; %bb.89:                               ;   in Loop: Header=BB8_79 Depth=1
	v_mov_b32_e32 v2, 0
	s_and_saveexec_b64 s[62:63], s[28:29]
	s_cbranch_execz .LBB8_476
; %bb.90:                               ;   in Loop: Header=BB8_79 Depth=1
	s_and_saveexec_b64 s[30:31], s[0:1]
	s_cbranch_execz .LBB8_92
; %bb.91:                               ;   in Loop: Header=BB8_79 Depth=1
	s_trap 2
	ds_read2_b64 v[24:27], v0 offset1:1
	ds_read_b64 v[12:13], v0
	s_waitcnt lgkmcnt(0)
	v_lshl_add_u64 v[16:17], v[24:25], 0, v[10:11]
	v_lshl_add_u64 v[24:25], v[26:27], 0, v[10:11]
	ds_write_b64 v0, v[16:17]
	ds_write_b64 v0, v[24:25]
	v_accvgpr_read_b32 v24, a26
	v_lshl_add_u64 v[10:11], v[12:13], 0, v[10:11]
	v_cmp_ne_u64_e32 vcc, 0, v[12:13]
	v_mov_b64_e32 v[26:27], v[0:1]
	v_accvgpr_read_b32 v25, a27
	v_cndmask_b32_e32 v11, 0, v11, vcc
	v_cndmask_b32_e32 v10, 0, v10, vcc
	ds_write_b64 v0, v[10:11]
.LBB8_92:                               ;   in Loop: Header=BB8_79 Depth=1
	s_or_b64 exec, exec, s[30:31]
	v_and_b32_e32 v2, 8, v62
	v_cmp_ne_u32_e32 vcc, 0, v2
	s_mov_b64 s[34:35], -1
	s_and_saveexec_b64 s[30:31], vcc
	s_cbranch_execz .LBB8_139
; %bb.93:                               ;   in Loop: Header=BB8_79 Depth=1
	v_lshl_add_u64 v[12:13], v[32:33], 0, 8
	v_lshl_add_u64 v[10:11], v[8:9], 0, 1
	v_cmp_lt_u64_e32 vcc, v[12:13], v[10:11]
	v_mov_b32_e32 v2, 1
	s_and_saveexec_b64 s[34:35], vcc
	s_cbranch_execz .LBB8_138
; %bb.94:                               ;   in Loop: Header=BB8_79 Depth=1
	s_mov_b64 s[36:37], 0
	v_mov_b32_e32 v2, 0
                                        ; implicit-def: $sgpr64_sgpr65
	s_branch .LBB8_105
.LBB8_95:                               ;   in Loop: Header=BB8_98 Depth=2
	s_or_b64 exec, exec, s[70:71]
	v_mov_b32_e32 v13, 0
	s_orn2_b64 s[68:69], s[68:69], exec
.LBB8_96:                               ;   in Loop: Header=BB8_98 Depth=2
	s_or_b64 exec, exec, s[66:67]
	s_andn2_b64 vcc, s[62:63], exec
	s_and_b64 s[62:63], s[68:69], exec
	s_or_b64 s[62:63], vcc, s[62:63]
	v_mov_b32_e32 v12, v13
.LBB8_97:                               ;   in Loop: Header=BB8_98 Depth=2
	s_or_b64 exec, exec, s[64:65]
	s_waitcnt vmcnt(0) lgkmcnt(0)
	v_lshl_add_u64 v[16:17], v[32:33], 0, v[2:3]
	v_cmp_ge_u64_e32 vcc, v[16:17], v[10:11]
	s_xor_b64 s[64:65], s[62:63], -1
	s_or_b64 vcc, s[64:65], vcc
	s_and_b64 vcc, exec, vcc
	s_or_b64 s[36:37], vcc, s[36:37]
	s_andn2_b64 exec, exec, s[36:37]
	s_cbranch_execz .LBB8_109
.LBB8_98:                               ;   Parent Loop BB8_79 Depth=1
                                        ; =>  This Inner Loop Header: Depth=2
	s_sleep 1
	flat_load_dwordx2 v[32:33], v[20:21] sc0 sc1
	v_and_b32_e32 v13, 64, v62
	v_cmp_eq_u32_e32 vcc, 0, v13
	s_andn2_b64 s[62:63], s[62:63], exec
	s_and_saveexec_b64 s[64:65], vcc
	s_cbranch_execz .LBB8_97
; %bb.99:                               ;   in Loop: Header=BB8_98 Depth=2
	v_add_u32_e32 v13, 1, v12
	v_cmp_lt_i32_e32 vcc, s81, v12
	s_mov_b64 s[68:69], -1
	s_and_saveexec_b64 s[66:67], vcc
	s_cbranch_execz .LBB8_96
; %bb.100:                              ;   in Loop: Header=BB8_98 Depth=2
	s_trap 2
	ds_read_b64 v[12:13], v0
	s_waitcnt vmcnt(0) lgkmcnt(0)
	flat_load_dword v12, v[12:13] sc0 sc1
	s_waitcnt vmcnt(0) lgkmcnt(0)
	buffer_inv sc0 sc1
	v_cmp_ne_u32_e32 vcc, 0, v12
	s_and_saveexec_b64 s[70:71], vcc
	s_cbranch_execz .LBB8_95
; %bb.101:                              ;   in Loop: Header=BB8_98 Depth=2
	v_or_b32_e32 v62, 64, v62
	s_xor_b64 s[68:69], exec, -1
	ds_write_b32 v0, v12
	s_trap 2
	s_branch .LBB8_95
.LBB8_102:                              ;   in Loop: Header=BB8_105 Depth=2
	s_or_b64 exec, exec, s[72:73]
	v_mov_b32_e32 v12, 0
	s_orn2_b64 s[70:71], s[70:71], exec
.LBB8_103:                              ;   in Loop: Header=BB8_105 Depth=2
	s_or_b64 exec, exec, s[68:69]
	s_andn2_b64 vcc, s[64:65], exec
	s_and_b64 s[64:65], s[70:71], exec
	s_or_b64 s[64:65], vcc, s[64:65]
	v_mov_b32_e32 v2, v12
.LBB8_104:                              ;   in Loop: Header=BB8_105 Depth=2
	s_or_b64 exec, exec, s[66:67]
	s_waitcnt vmcnt(0) lgkmcnt(0)
	v_lshl_add_u64 v[12:13], v[32:33], 0, 8
	v_cmp_ge_u64_e32 vcc, v[12:13], v[10:11]
	s_xor_b64 s[66:67], s[64:65], -1
	s_or_b64 vcc, s[66:67], vcc
	s_and_b64 vcc, exec, vcc
	s_or_b64 s[36:37], vcc, s[36:37]
	s_andn2_b64 exec, exec, s[36:37]
	s_cbranch_execz .LBB8_137
.LBB8_105:                              ;   Parent Loop BB8_79 Depth=1
                                        ; =>  This Inner Loop Header: Depth=2
	s_sleep 1
	flat_load_dwordx2 v[32:33], v[20:21] sc0 sc1
	v_and_b32_e32 v12, 64, v62
	v_cmp_eq_u32_e32 vcc, 0, v12
	s_andn2_b64 s[64:65], s[64:65], exec
	s_and_saveexec_b64 s[66:67], vcc
	s_cbranch_execz .LBB8_104
; %bb.106:                              ;   in Loop: Header=BB8_105 Depth=2
	v_add_u32_e32 v12, 1, v2
	v_cmp_lt_i32_e32 vcc, s81, v2
	s_mov_b64 s[70:71], -1
	s_and_saveexec_b64 s[68:69], vcc
	s_cbranch_execz .LBB8_103
; %bb.107:                              ;   in Loop: Header=BB8_105 Depth=2
	s_trap 2
	ds_read_b64 v[12:13], v0
	s_waitcnt vmcnt(0) lgkmcnt(0)
	flat_load_dword v2, v[12:13] sc0 sc1
	s_waitcnt vmcnt(0) lgkmcnt(0)
	buffer_inv sc0 sc1
	v_cmp_ne_u32_e32 vcc, 0, v2
	s_and_saveexec_b64 s[72:73], vcc
	s_cbranch_execz .LBB8_102
; %bb.108:                              ;   in Loop: Header=BB8_105 Depth=2
	v_or_b32_e32 v62, 64, v62
	s_xor_b64 s[70:71], exec, -1
	ds_write_b32 v0, v2
	s_trap 2
	s_branch .LBB8_102
.LBB8_109:                              ;   in Loop: Header=BB8_79 Depth=1
	s_or_b64 exec, exec, s[36:37]
	v_and_b32_e32 v12, 12, v62
.LBB8_110:                              ;   in Loop: Header=BB8_79 Depth=1
	s_or_b64 exec, exec, s[34:35]
	v_cmp_eq_u32_e32 vcc, 0, v12
	s_orn2_b64 s[34:35], vcc, exec
	;;#ASMSTART
	s_wakeup
	;;#ASMEND
.LBB8_111:                              ;   in Loop: Header=BB8_79 Depth=1
	s_or_b64 exec, exec, s[30:31]
	s_xor_b64 vcc, s[34:35], -1
	v_min_i32_e32 v58, v58, v31
	s_and_saveexec_b64 s[34:35], vcc
	s_cbranch_execz .LBB8_125
; %bb.112:                              ;   in Loop: Header=BB8_79 Depth=1
	v_and_b32_e32 v2, 0x108, v62
	v_cmp_ne_u32_e32 vcc, s82, v2
	s_and_saveexec_b64 s[30:31], vcc
	s_xor_b64 vcc, exec, s[30:31]
                                        ; implicit-def: $vgpr10_vgpr11
; %bb.113:                              ;   in Loop: Header=BB8_79 Depth=1
	v_and_b32_e32 v10, 7, v8
; %bb.114:                              ;   in Loop: Header=BB8_79 Depth=1
	s_andn2_saveexec_b64 vcc, vcc
	s_cbranch_execz .LBB8_116
; %bb.115:                              ;   in Loop: Header=BB8_79 Depth=1
	v_and_b32_e32 v10, 7, v8
	v_mad_u64_u32 v[12:13], s[30:31], v10, 24, v[6:7]
	v_ashrrev_i32_e32 v59, 31, v58
	flat_store_dwordx2 v[12:13], v[58:59] offset:8
.LBB8_116:                              ;   in Loop: Header=BB8_79 Depth=1
	s_or_b64 exec, exec, vcc
	v_and_b32_e32 v2, 0x100, v62
	v_cmp_ne_u32_e32 vcc, 0, v2
	s_mov_b64 s[30:31], -1
                                        ; implicit-def: $vgpr12_vgpr13
	s_and_saveexec_b64 s[36:37], vcc
	s_cbranch_execz .LBB8_120
; %bb.117:                              ;   in Loop: Header=BB8_79 Depth=1
	v_mad_u64_u32 v[16:17], vcc, v10, 24, v[6:7]
	v_mov_b32_e32 v2, v17
	v_mad_u64_u32 v[12:13], vcc, v3, 24, v[2:3]
	v_mov_b32_e32 v17, v12
	flat_load_dword v2, v[16:17]
                                        ; implicit-def: $vgpr12_vgpr13
	s_waitcnt vmcnt(0) lgkmcnt(0)
	v_cmp_ne_u32_e32 vcc, 1, v2
	v_cmp_eq_u32_e64 s[30:31], 1, v2
	s_and_saveexec_b64 s[62:63], s[30:31]
	s_cbranch_execz .LBB8_119
; %bb.118:                              ;   in Loop: Header=BB8_79 Depth=1
	flat_load_dword v12, v[16:17] offset:4 sc0 sc1
	s_waitcnt vmcnt(0) lgkmcnt(0)
	v_ashrrev_i32_e32 v13, 31, v12
.LBB8_119:                              ;   in Loop: Header=BB8_79 Depth=1
	s_or_b64 exec, exec, s[62:63]
	s_orn2_b64 s[30:31], vcc, exec
.LBB8_120:                              ;   in Loop: Header=BB8_79 Depth=1
	s_or_b64 exec, exec, s[36:37]
	s_and_saveexec_b64 vcc, s[30:31]
; %bb.121:                              ;   in Loop: Header=BB8_79 Depth=1
	v_accvgpr_read_b32 v11, a9
	v_mul_lo_u32 v2, v3, v54
	v_mul_lo_u32 v11, v10, v11
	v_mad_u64_u32 v[12:13], s[30:31], v10, v54, 0
	v_add3_u32 v13, v13, v11, v2
; %bb.122:                              ;   in Loop: Header=BB8_79 Depth=1
	s_or_b64 exec, exec, vcc
	v_and_b32_e32 v2, 0x2000, v62
	v_lshl_add_u64 v[10:11], v[40:41], 0, v[12:13]
	v_cmp_ne_u32_e32 vcc, 0, v2
	s_trap 2
	ds_write_b64 v0, v[10:11]
	s_and_saveexec_b64 s[30:31], vcc
	s_cbranch_execz .LBB8_124
; %bb.123:                              ;   in Loop: Header=BB8_79 Depth=1
	ds_read_b64 v[10:11], v0 offset:584
	s_waitcnt lgkmcnt(0)
	v_lshl_add_u64 v[10:11], v[10:11], 0, 1
	ds_write_b64 v0, v[10:11] offset:584
.LBB8_124:                              ;   in Loop: Header=BB8_79 Depth=1
	s_or_b64 exec, exec, s[30:31]
	v_lshl_add_u64 v[8:9], v[8:9], 0, 1
.LBB8_125:                              ;   in Loop: Header=BB8_79 Depth=1
	s_or_b64 exec, exec, s[34:35]
	s_and_saveexec_b64 s[30:31], s[10:11]
	s_cbranch_execz .LBB8_168
; %bb.126:                              ;   in Loop: Header=BB8_79 Depth=1
	s_and_saveexec_b64 vcc, s[46:47]
	s_xor_b64 s[34:35], exec, vcc
	s_cbranch_execz .LBB8_165
; %bb.127:                              ;   in Loop: Header=BB8_79 Depth=1
	s_and_saveexec_b64 s[36:37], s[16:17]
	s_cbranch_execz .LBB8_164
; %bb.128:                              ;   in Loop: Header=BB8_79 Depth=1
	s_mov_b64 s[64:65], exec
	v_mbcnt_lo_u32_b32 v2, s64, 0
	v_mbcnt_hi_u32_b32 v2, s65, v2
	v_cmp_eq_u32_e32 vcc, 0, v2
	s_waitcnt lgkmcnt(0)
	s_and_saveexec_b64 s[62:63], vcc
	s_cbranch_execz .LBB8_130
; %bb.129:                              ;   in Loop: Header=BB8_79 Depth=1
	s_bcnt1_i32_b64 vcc_lo, s[64:65]
	v_mov_b32_e32 v2, vcc_lo
	ds_add_u64 v0, v[2:3]
	s_trap 2
.LBB8_130:                              ;   in Loop: Header=BB8_79 Depth=1
	s_or_b64 exec, exec, s[62:63]
	s_trap 2
	ds_read_b64 v[10:11], v0
	v_lshl_add_u64 v[28:29], v[28:29], 0, v[34:35]
	s_waitcnt lgkmcnt(0)
	v_cmp_lt_u64_e32 vcc, v[10:11], v[28:29]
	s_and_saveexec_b64 s[62:63], vcc
	s_cbranch_execz .LBB8_163
; %bb.131:                              ;   in Loop: Header=BB8_79 Depth=1
	s_mov_b32 s74, 0
	s_mov_b64 s[64:65], 0
                                        ; implicit-def: $sgpr66_sgpr67
                                        ; implicit-def: $sgpr68_sgpr69
	s_branch .LBB8_133
.LBB8_132:                              ;   in Loop: Header=BB8_133 Depth=2
	s_or_b64 exec, exec, s[72:73]
	s_and_b64 vcc, exec, vcc
	s_or_b64 s[64:65], vcc, s[64:65]
	s_andn2_b64 vcc, s[66:67], exec
	s_and_b64 s[66:67], s[68:69], exec
	s_or_b64 s[66:67], vcc, s[66:67]
	s_andn2_b64 exec, exec, s[64:65]
	s_cbranch_execz .LBB8_161
.LBB8_133:                              ;   Parent Loop BB8_79 Depth=1
                                        ; =>  This Inner Loop Header: Depth=2
	s_add_i32 s74, s74, 1
	s_cmpk_lg_i32 s74, 0x2710
	s_cselect_b64 s[70:71], -1, 0
	s_and_b64 vcc, exec, s[70:71]
                                        ; implicit-def: $sgpr72_sgpr73
	s_cbranch_vccnz .LBB8_135
; %bb.134:                              ;   in Loop: Header=BB8_133 Depth=2
	s_trap 2
	ds_read_b64 v[10:11], v0
	s_andn2_b64 s[70:71], s[70:71], exec
	s_mov_b32 s74, 0
	s_mov_b64 s[72:73], -1
	s_waitcnt vmcnt(0) lgkmcnt(0)
	flat_load_dword v2, v[10:11] sc0 sc1
	s_waitcnt vmcnt(0) lgkmcnt(0)
	buffer_inv sc0 sc1
	v_cmp_eq_u32_e32 vcc, 0, v2
	s_and_b64 vcc, vcc, exec
	s_or_b64 s[70:71], s[70:71], vcc
.LBB8_135:                              ;   in Loop: Header=BB8_133 Depth=2
	s_andn2_b64 s[68:69], s[68:69], exec
	s_and_b64 s[72:73], s[72:73], exec
	s_mov_b64 vcc, -1
	s_or_b64 s[68:69], s[68:69], s[72:73]
	s_and_saveexec_b64 s[72:73], s[70:71]
	s_cbranch_execz .LBB8_132
; %bb.136:                              ;   in Loop: Header=BB8_133 Depth=2
	s_sleep 1
	s_trap 2
	ds_read_b64 v[10:11], v0
	s_andn2_b64 s[68:69], s[68:69], exec
	s_waitcnt lgkmcnt(0)
	v_cmp_ge_u64_e32 vcc, v[10:11], v[28:29]
	s_orn2_b64 vcc, vcc, exec
	s_branch .LBB8_132
.LBB8_137:                              ;   in Loop: Header=BB8_79 Depth=1
	s_or_b64 exec, exec, s[36:37]
	v_and_b32_e32 v2, 8, v62
.LBB8_138:                              ;   in Loop: Header=BB8_79 Depth=1
	s_or_b64 exec, exec, s[34:35]
	v_cmp_eq_u32_e32 vcc, 0, v2
	s_orn2_b64 s[34:35], vcc, exec
	;;#ASMSTART
	s_wakeup
	;;#ASMEND
.LBB8_139:                              ;   in Loop: Header=BB8_79 Depth=1
	s_or_b64 exec, exec, s[30:31]
	s_xor_b64 vcc, s[34:35], -1
	v_min_i32_e32 v58, v58, v31
	s_and_saveexec_b64 s[34:35], vcc
	s_cbranch_execz .LBB8_149
; %bb.140:                              ;   in Loop: Header=BB8_79 Depth=1
	v_and_b32_e32 v2, 0x100, v62
	v_cmp_ne_u32_e32 vcc, 0, v2
	v_and_b32_e32 v2, 7, v8
	s_mov_b64 s[30:31], -1
                                        ; implicit-def: $vgpr10_vgpr11
	s_and_saveexec_b64 s[36:37], vcc
	s_cbranch_execz .LBB8_144
; %bb.141:                              ;   in Loop: Header=BB8_79 Depth=1
	v_mad_u64_u32 v[12:13], vcc, v2, 24, v[6:7]
	flat_load_dword v10, v[12:13]
	v_ashrrev_i32_e32 v59, 31, v58
	flat_store_dwordx2 v[12:13], v[58:59] offset:8
	s_waitcnt vmcnt(0) lgkmcnt(0)
	v_cmp_ne_u32_e32 vcc, 1, v10
	v_cmp_eq_u32_e64 s[30:31], 1, v10
                                        ; implicit-def: $vgpr10_vgpr11
	s_and_saveexec_b64 s[64:65], s[30:31]
	s_cbranch_execz .LBB8_143
; %bb.142:                              ;   in Loop: Header=BB8_79 Depth=1
	flat_load_dword v10, v[12:13] offset:4 sc0 sc1
	s_waitcnt vmcnt(0) lgkmcnt(0)
	v_ashrrev_i32_e32 v11, 31, v10
.LBB8_143:                              ;   in Loop: Header=BB8_79 Depth=1
	s_or_b64 exec, exec, s[64:65]
	s_orn2_b64 s[30:31], vcc, exec
.LBB8_144:                              ;   in Loop: Header=BB8_79 Depth=1
	s_or_b64 exec, exec, s[36:37]
	s_and_saveexec_b64 vcc, s[30:31]
; %bb.145:                              ;   in Loop: Header=BB8_79 Depth=1
	v_mad_i64_i32 v[10:11], s[30:31], v2, v54, 0
; %bb.146:                              ;   in Loop: Header=BB8_79 Depth=1
	s_or_b64 exec, exec, vcc
	v_and_b32_e32 v2, 0x2000, v62
	v_lshl_add_u64 v[10:11], v[40:41], 0, v[10:11]
	v_cmp_ne_u32_e32 vcc, 0, v2
	ds_write_b64 v0, v[10:11] offset:792
	s_and_saveexec_b64 s[30:31], vcc
	s_cbranch_execz .LBB8_148
; %bb.147:                              ;   in Loop: Header=BB8_79 Depth=1
	ds_read_b64 v[10:11], v0 offset:584
	s_waitcnt lgkmcnt(0)
	v_lshl_add_u64 v[10:11], v[10:11], 0, 1
	ds_write_b64 v0, v[10:11] offset:584
.LBB8_148:                              ;   in Loop: Header=BB8_79 Depth=1
	s_or_b64 exec, exec, s[30:31]
	v_lshl_add_u64 v[8:9], v[8:9], 0, 1
.LBB8_149:                              ;   in Loop: Header=BB8_79 Depth=1
	s_or_b64 exec, exec, s[34:35]
	s_and_saveexec_b64 s[30:31], s[10:11]
	s_cbranch_execz .LBB8_187
; %bb.150:                              ;   in Loop: Header=BB8_79 Depth=1
	s_and_saveexec_b64 vcc, s[46:47]
	s_xor_b64 s[34:35], exec, vcc
	s_cbranch_execz .LBB8_184
; %bb.151:                              ;   in Loop: Header=BB8_79 Depth=1
	s_and_saveexec_b64 s[36:37], s[16:17]
	s_cbranch_execz .LBB8_183
; %bb.152:                              ;   in Loop: Header=BB8_79 Depth=1
	s_mov_b64 s[66:67], exec
	v_mbcnt_lo_u32_b32 v2, s66, 0
	v_mbcnt_hi_u32_b32 v2, s67, v2
	v_cmp_eq_u32_e32 vcc, 0, v2
	s_waitcnt lgkmcnt(0)
	s_and_saveexec_b64 s[64:65], vcc
	s_cbranch_execz .LBB8_154
; %bb.153:                              ;   in Loop: Header=BB8_79 Depth=1
	s_bcnt1_i32_b64 vcc_lo, s[66:67]
	v_mov_b32_e32 v2, vcc_lo
	ds_add_u64 v0, v[2:3]
	s_trap 2
.LBB8_154:                              ;   in Loop: Header=BB8_79 Depth=1
	s_or_b64 exec, exec, s[64:65]
	s_trap 2
	ds_read_b64 v[10:11], v0
	v_lshl_add_u64 v[28:29], v[28:29], 0, v[34:35]
	s_waitcnt lgkmcnt(0)
	v_cmp_lt_u64_e32 vcc, v[10:11], v[28:29]
	s_and_saveexec_b64 s[64:65], vcc
	s_cbranch_execz .LBB8_182
; %bb.155:                              ;   in Loop: Header=BB8_79 Depth=1
	s_mov_b32 s76, 0
	s_mov_b64 s[66:67], 0
                                        ; implicit-def: $sgpr68_sgpr69
                                        ; implicit-def: $sgpr70_sgpr71
	s_branch .LBB8_157
.LBB8_156:                              ;   in Loop: Header=BB8_157 Depth=2
	s_or_b64 exec, exec, s[74:75]
	s_and_b64 vcc, exec, vcc
	s_or_b64 s[66:67], vcc, s[66:67]
	s_andn2_b64 vcc, s[68:69], exec
	s_and_b64 s[68:69], s[70:71], exec
	s_or_b64 s[68:69], vcc, s[68:69]
	s_andn2_b64 exec, exec, s[66:67]
	s_cbranch_execz .LBB8_180
.LBB8_157:                              ;   Parent Loop BB8_79 Depth=1
                                        ; =>  This Inner Loop Header: Depth=2
	s_add_i32 s76, s76, 1
	s_cmpk_lg_i32 s76, 0x2710
	s_cselect_b64 s[72:73], -1, 0
	s_and_b64 vcc, exec, s[72:73]
                                        ; implicit-def: $sgpr74_sgpr75
	s_cbranch_vccnz .LBB8_159
; %bb.158:                              ;   in Loop: Header=BB8_157 Depth=2
	s_trap 2
	ds_read_b64 v[10:11], v0
	s_andn2_b64 s[72:73], s[72:73], exec
	s_mov_b32 s76, 0
	s_mov_b64 s[74:75], -1
	s_waitcnt vmcnt(0) lgkmcnt(0)
	flat_load_dword v2, v[10:11] sc0 sc1
	s_waitcnt vmcnt(0) lgkmcnt(0)
	buffer_inv sc0 sc1
	v_cmp_eq_u32_e32 vcc, 0, v2
	s_and_b64 vcc, vcc, exec
	s_or_b64 s[72:73], s[72:73], vcc
.LBB8_159:                              ;   in Loop: Header=BB8_157 Depth=2
	s_andn2_b64 s[70:71], s[70:71], exec
	s_and_b64 s[74:75], s[74:75], exec
	s_mov_b64 vcc, -1
	s_or_b64 s[70:71], s[70:71], s[74:75]
	s_and_saveexec_b64 s[74:75], s[72:73]
	s_cbranch_execz .LBB8_156
; %bb.160:                              ;   in Loop: Header=BB8_157 Depth=2
	s_sleep 1
	s_trap 2
	ds_read_b64 v[10:11], v0
	s_andn2_b64 s[70:71], s[70:71], exec
	s_waitcnt lgkmcnt(0)
	v_cmp_ge_u64_e32 vcc, v[10:11], v[28:29]
	s_orn2_b64 vcc, vcc, exec
	s_branch .LBB8_156
.LBB8_161:                              ;   in Loop: Header=BB8_79 Depth=1
	s_or_b64 exec, exec, s[64:65]
	s_and_saveexec_b64 vcc, s[66:67]
	s_xor_b64 vcc, exec, vcc
	s_cbranch_execz .LBB8_163
; %bb.162:                              ;   in Loop: Header=BB8_79 Depth=1
	ds_write_b32 v0, v60
	s_trap 2
.LBB8_163:                              ;   in Loop: Header=BB8_79 Depth=1
	s_or_b64 exec, exec, s[62:63]
	;;#ASMSTART
	s_wakeup
	;;#ASMEND
.LBB8_164:                              ;   in Loop: Header=BB8_79 Depth=1
	s_or_b64 exec, exec, s[36:37]
.LBB8_165:                              ;   in Loop: Header=BB8_79 Depth=1
	s_andn2_saveexec_b64 vcc, s[34:35]
	s_cbranch_execz .LBB8_167
; %bb.166:                              ;   in Loop: Header=BB8_79 Depth=1
	s_waitcnt lgkmcnt(0)
	s_barrier
.LBB8_167:                              ;   in Loop: Header=BB8_79 Depth=1
	s_or_b64 exec, exec, vcc
.LBB8_168:                              ;   in Loop: Header=BB8_79 Depth=1
	s_or_b64 exec, exec, s[30:31]
	s_trap 2
	ds_read_b32 v10, v0
	v_and_b32_e32 v2, 0x4000, v62
	v_cmp_ne_u32_e32 vcc, 0, v2
	s_xor_b64 s[30:31], s[6:7], -1
	s_and_b64 vcc, s[30:31], vcc
	s_and_saveexec_b64 s[30:31], vcc
	s_cbranch_execz .LBB8_206
; %bb.169:                              ;   in Loop: Header=BB8_79 Depth=1
	s_and_saveexec_b64 vcc, s[46:47]
	s_xor_b64 s[34:35], exec, vcc
	s_cbranch_execz .LBB8_203
; %bb.170:                              ;   in Loop: Header=BB8_79 Depth=1
	s_and_saveexec_b64 s[36:37], s[16:17]
	s_cbranch_execz .LBB8_202
; %bb.171:                              ;   in Loop: Header=BB8_79 Depth=1
	s_mov_b64 s[64:65], exec
	v_mbcnt_lo_u32_b32 v2, s64, 0
	v_mbcnt_hi_u32_b32 v2, s65, v2
	v_cmp_eq_u32_e32 vcc, 0, v2
	s_waitcnt lgkmcnt(0)
	s_and_saveexec_b64 s[62:63], vcc
	s_cbranch_execz .LBB8_173
; %bb.172:                              ;   in Loop: Header=BB8_79 Depth=1
	s_bcnt1_i32_b64 vcc_lo, s[64:65]
	v_mov_b32_e32 v2, vcc_lo
	ds_add_u64 v0, v[2:3]
	s_trap 2
.LBB8_173:                              ;   in Loop: Header=BB8_79 Depth=1
	s_or_b64 exec, exec, s[62:63]
	s_trap 2
	ds_read_b64 v[12:13], v0
	v_lshl_add_u64 v[28:29], v[28:29], 0, v[34:35]
	s_waitcnt lgkmcnt(0)
	v_cmp_lt_u64_e32 vcc, v[12:13], v[28:29]
	s_and_saveexec_b64 s[62:63], vcc
	s_cbranch_execz .LBB8_201
; %bb.174:                              ;   in Loop: Header=BB8_79 Depth=1
	s_mov_b32 s74, 0
	s_mov_b64 s[64:65], 0
                                        ; implicit-def: $sgpr66_sgpr67
                                        ; implicit-def: $sgpr68_sgpr69
	s_branch .LBB8_176
.LBB8_175:                              ;   in Loop: Header=BB8_176 Depth=2
	s_or_b64 exec, exec, s[72:73]
	s_and_b64 vcc, exec, vcc
	s_or_b64 s[64:65], vcc, s[64:65]
	s_andn2_b64 vcc, s[66:67], exec
	s_and_b64 s[66:67], s[68:69], exec
	s_or_b64 s[66:67], vcc, s[66:67]
	s_andn2_b64 exec, exec, s[64:65]
	s_cbranch_execz .LBB8_199
.LBB8_176:                              ;   Parent Loop BB8_79 Depth=1
                                        ; =>  This Inner Loop Header: Depth=2
	s_add_i32 s74, s74, 1
	s_cmpk_lg_i32 s74, 0x2710
	s_cselect_b64 s[70:71], -1, 0
	s_and_b64 vcc, exec, s[70:71]
                                        ; implicit-def: $sgpr72_sgpr73
	s_cbranch_vccnz .LBB8_178
; %bb.177:                              ;   in Loop: Header=BB8_176 Depth=2
	s_trap 2
	ds_read_b64 v[12:13], v0
	s_andn2_b64 s[70:71], s[70:71], exec
	s_mov_b32 s74, 0
	s_mov_b64 s[72:73], -1
	s_waitcnt vmcnt(0) lgkmcnt(0)
	flat_load_dword v2, v[12:13] sc0 sc1
	s_waitcnt vmcnt(0) lgkmcnt(0)
	buffer_inv sc0 sc1
	v_cmp_eq_u32_e32 vcc, 0, v2
	s_and_b64 vcc, vcc, exec
	s_or_b64 s[70:71], s[70:71], vcc
.LBB8_178:                              ;   in Loop: Header=BB8_176 Depth=2
	s_andn2_b64 s[68:69], s[68:69], exec
	s_and_b64 s[72:73], s[72:73], exec
	s_mov_b64 vcc, -1
	s_or_b64 s[68:69], s[68:69], s[72:73]
	s_and_saveexec_b64 s[72:73], s[70:71]
	s_cbranch_execz .LBB8_175
; %bb.179:                              ;   in Loop: Header=BB8_176 Depth=2
	s_sleep 1
	s_trap 2
	ds_read_b64 v[12:13], v0
	s_andn2_b64 s[68:69], s[68:69], exec
	s_waitcnt lgkmcnt(0)
	v_cmp_ge_u64_e32 vcc, v[12:13], v[28:29]
	s_orn2_b64 vcc, vcc, exec
	s_branch .LBB8_175
.LBB8_180:                              ;   in Loop: Header=BB8_79 Depth=1
	s_or_b64 exec, exec, s[66:67]
	s_and_saveexec_b64 vcc, s[68:69]
	s_xor_b64 vcc, exec, vcc
	s_cbranch_execz .LBB8_182
; %bb.181:                              ;   in Loop: Header=BB8_79 Depth=1
	ds_write_b32 v0, v60
	s_trap 2
.LBB8_182:                              ;   in Loop: Header=BB8_79 Depth=1
	s_or_b64 exec, exec, s[64:65]
	;;#ASMSTART
	s_wakeup
	;;#ASMEND
.LBB8_183:                              ;   in Loop: Header=BB8_79 Depth=1
	s_or_b64 exec, exec, s[36:37]
.LBB8_184:                              ;   in Loop: Header=BB8_79 Depth=1
	s_andn2_saveexec_b64 vcc, s[34:35]
	s_cbranch_execz .LBB8_186
; %bb.185:                              ;   in Loop: Header=BB8_79 Depth=1
	s_waitcnt lgkmcnt(0)
	s_barrier
.LBB8_186:                              ;   in Loop: Header=BB8_79 Depth=1
	s_or_b64 exec, exec, vcc
.LBB8_187:                              ;   in Loop: Header=BB8_79 Depth=1
	s_or_b64 exec, exec, s[30:31]
	s_trap 2
	ds_read_b32 v10, v0
	v_and_b32_e32 v2, 0x4000, v62
	v_cmp_ne_u32_e32 vcc, 0, v2
	s_xor_b64 s[30:31], s[6:7], -1
	s_and_b64 vcc, s[30:31], vcc
	s_and_saveexec_b64 s[30:31], vcc
	s_cbranch_execz .LBB8_293
; %bb.188:                              ;   in Loop: Header=BB8_79 Depth=1
	s_and_saveexec_b64 vcc, s[46:47]
	s_xor_b64 s[34:35], exec, vcc
	s_cbranch_execz .LBB8_290
; %bb.189:                              ;   in Loop: Header=BB8_79 Depth=1
	s_and_saveexec_b64 s[36:37], s[16:17]
	s_cbranch_execz .LBB8_289
; %bb.190:                              ;   in Loop: Header=BB8_79 Depth=1
	s_mov_b64 s[66:67], exec
	v_mbcnt_lo_u32_b32 v2, s66, 0
	v_mbcnt_hi_u32_b32 v2, s67, v2
	v_cmp_eq_u32_e32 vcc, 0, v2
	s_waitcnt lgkmcnt(0)
	s_and_saveexec_b64 s[64:65], vcc
	s_cbranch_execz .LBB8_192
; %bb.191:                              ;   in Loop: Header=BB8_79 Depth=1
	s_bcnt1_i32_b64 vcc_lo, s[66:67]
	v_mov_b32_e32 v2, vcc_lo
	ds_add_u64 v0, v[2:3]
	s_trap 2
.LBB8_192:                              ;   in Loop: Header=BB8_79 Depth=1
	s_or_b64 exec, exec, s[64:65]
	s_trap 2
	ds_read_b64 v[12:13], v0
	v_lshl_add_u64 v[28:29], v[28:29], 0, v[34:35]
	s_waitcnt lgkmcnt(0)
	v_cmp_lt_u64_e32 vcc, v[12:13], v[28:29]
	s_and_saveexec_b64 s[64:65], vcc
	s_cbranch_execz .LBB8_288
; %bb.193:                              ;   in Loop: Header=BB8_79 Depth=1
	s_mov_b32 s76, 0
	s_mov_b64 s[66:67], 0
                                        ; implicit-def: $sgpr68_sgpr69
                                        ; implicit-def: $sgpr70_sgpr71
	s_branch .LBB8_195
.LBB8_194:                              ;   in Loop: Header=BB8_195 Depth=2
	s_or_b64 exec, exec, s[74:75]
	s_and_b64 vcc, exec, vcc
	s_or_b64 s[66:67], vcc, s[66:67]
	s_andn2_b64 vcc, s[68:69], exec
	s_and_b64 s[68:69], s[70:71], exec
	s_or_b64 s[68:69], vcc, s[68:69]
	s_andn2_b64 exec, exec, s[66:67]
	s_cbranch_execz .LBB8_286
.LBB8_195:                              ;   Parent Loop BB8_79 Depth=1
                                        ; =>  This Inner Loop Header: Depth=2
	s_add_i32 s76, s76, 1
	s_cmpk_lg_i32 s76, 0x2710
	s_cselect_b64 s[72:73], -1, 0
	s_and_b64 vcc, exec, s[72:73]
                                        ; implicit-def: $sgpr74_sgpr75
	s_cbranch_vccnz .LBB8_197
; %bb.196:                              ;   in Loop: Header=BB8_195 Depth=2
	s_trap 2
	ds_read_b64 v[12:13], v0
	s_andn2_b64 s[72:73], s[72:73], exec
	s_mov_b32 s76, 0
	s_mov_b64 s[74:75], -1
	s_waitcnt vmcnt(0) lgkmcnt(0)
	flat_load_dword v2, v[12:13] sc0 sc1
	s_waitcnt vmcnt(0) lgkmcnt(0)
	buffer_inv sc0 sc1
	v_cmp_eq_u32_e32 vcc, 0, v2
	s_and_b64 vcc, vcc, exec
	s_or_b64 s[72:73], s[72:73], vcc
.LBB8_197:                              ;   in Loop: Header=BB8_195 Depth=2
	s_andn2_b64 s[70:71], s[70:71], exec
	s_and_b64 s[74:75], s[74:75], exec
	s_mov_b64 vcc, -1
	s_or_b64 s[70:71], s[70:71], s[74:75]
	s_and_saveexec_b64 s[74:75], s[72:73]
	s_cbranch_execz .LBB8_194
; %bb.198:                              ;   in Loop: Header=BB8_195 Depth=2
	s_sleep 1
	s_trap 2
	ds_read_b64 v[12:13], v0
	s_andn2_b64 s[70:71], s[70:71], exec
	s_waitcnt lgkmcnt(0)
	v_cmp_ge_u64_e32 vcc, v[12:13], v[28:29]
	s_orn2_b64 vcc, vcc, exec
	s_branch .LBB8_194
.LBB8_199:                              ;   in Loop: Header=BB8_79 Depth=1
	s_or_b64 exec, exec, s[64:65]
	s_and_saveexec_b64 vcc, s[66:67]
	s_xor_b64 vcc, exec, vcc
	s_cbranch_execz .LBB8_201
; %bb.200:                              ;   in Loop: Header=BB8_79 Depth=1
	ds_write_b32 v0, v60
	s_trap 2
.LBB8_201:                              ;   in Loop: Header=BB8_79 Depth=1
	s_or_b64 exec, exec, s[62:63]
	;;#ASMSTART
	s_wakeup
	;;#ASMEND
.LBB8_202:                              ;   in Loop: Header=BB8_79 Depth=1
	s_or_b64 exec, exec, s[36:37]
.LBB8_203:                              ;   in Loop: Header=BB8_79 Depth=1
	s_andn2_saveexec_b64 vcc, s[34:35]
	s_cbranch_execz .LBB8_205
; %bb.204:                              ;   in Loop: Header=BB8_79 Depth=1
	s_waitcnt lgkmcnt(0)
	s_barrier
.LBB8_205:                              ;   in Loop: Header=BB8_79 Depth=1
	s_or_b64 exec, exec, vcc
.LBB8_206:                              ;   in Loop: Header=BB8_79 Depth=1
	s_or_b64 exec, exec, s[30:31]
	s_trap 2
	ds_read_b64 v[12:13], v0
	s_mov_b64 s[30:31], 0
	s_waitcnt lgkmcnt(0)
	v_readfirstlane_b32 vcc_lo, v12
	v_readfirstlane_b32 vcc_hi, v13
	s_cmp_eq_u64 vcc, 0
	s_cselect_b64 vcc, -1, 0
	s_or_b64 vcc, vcc, vcc
	s_and_b64 vcc, exec, vcc
	s_cbranch_vccnz .LBB8_240
; %bb.207:                              ;   in Loop: Header=BB8_79 Depth=1
	s_trap 2
	ds_read_b64 v[12:13], v0
	v_cmp_eq_u32_e64 s[30:31], 0, v10
	s_waitcnt lgkmcnt(0)
	v_cmp_ne_u64_e32 vcc, 0, v[12:13]
	v_cndmask_b32_e64 v2, 0, v58, s[30:31]
	s_cbranch_vccz .LBB8_245
; %bb.208:                              ;   in Loop: Header=BB8_79 Depth=1
	s_mov_b64 s[34:35], -1
	s_and_saveexec_b64 s[30:31], s[18:19]
	s_cbranch_execz .LBB8_210
; %bb.209:                              ;   in Loop: Header=BB8_79 Depth=1
	ds_read_b32 v10, v0 offset:720
	s_waitcnt lgkmcnt(0)
	v_and_b32_e32 v10, 15, v10
	v_cmp_eq_u32_e32 vcc, 0, v10
	s_orn2_b64 s[34:35], vcc, exec
.LBB8_210:                              ;   in Loop: Header=BB8_79 Depth=1
	s_or_b64 exec, exec, s[30:31]
	s_and_saveexec_b64 s[30:31], s[20:21]
	s_cbranch_execz .LBB8_212
; %bb.211:                              ;   in Loop: Header=BB8_79 Depth=1
	ds_read_b32 v10, v0 offset:784
	s_waitcnt lgkmcnt(0)
	v_and_b32_e32 v10, 15, v10
	v_cmp_eq_u32_e32 vcc, 0, v10
	s_and_b64 vcc, s[34:35], vcc
	s_andn2_b64 s[34:35], s[34:35], exec
	s_and_b64 vcc, vcc, exec
	s_or_b64 s[34:35], s[34:35], vcc
.LBB8_212:                              ;   in Loop: Header=BB8_79 Depth=1
	s_or_b64 exec, exec, s[30:31]
	s_xor_b64 vcc, s[34:35], -1
	v_cndmask_b32_e64 v10, 0, 1, vcc
	;;#ASMSTART
	;;#ASMEND
	s_mov_b64 s[30:31], -1
	v_cmp_ne_u32_e32 vcc, 0, v10
	v_mov_b32_e32 v46, 0
	v_mov_b32_e32 v47, v2
	;; [unrolled: 1-line block ×4, first 2 shown]
	s_cbranch_vccnz .LBB8_228
; %bb.213:                              ;   in Loop: Header=BB8_79 Depth=1
	v_ashrrev_i32_e32 v10, 31, v2
	v_lshrrev_b32_e32 v10, 21, v10
	v_add_u32_e32 v10, v2, v10
	v_ashrrev_i32_e32 v22, 11, v10
	v_sub_u32_e32 v48, v22, v23
	v_cmp_lt_i32_e32 vcc, 0, v48
	s_and_saveexec_b64 s[30:31], vcc
	s_cbranch_execz .LBB8_217
; %bb.214:                              ;   in Loop: Header=BB8_79 Depth=1
	s_trap 2
	ds_read_b64 v[10:11], v0
	ds_read_b128 v[24:27], v0
	v_accvgpr_read_b32 v16, a24
	v_accvgpr_read_b32 v17, a25
	s_mov_b64 s[34:35], 0
	s_waitcnt lgkmcnt(0)
	v_lshl_add_u64 v[10:11], v[10:11], 0, v[16:17]
	v_lshl_add_u64 v[12:13], v[24:25], 0, v[16:17]
	v_lshl_add_u64 v[16:17], v[26:27], 0, v[16:17]
.LBB8_215:                              ;   Parent Loop BB8_79 Depth=1
                                        ; =>  This Inner Loop Header: Depth=2
	global_load_dwordx4 v[24:27], v[10:11], off nt
	global_load_dwordx4 v[50:53], v[10:11], off offset:1024 nt
	v_sub_u32_e32 v48, v48, v34
	v_cmp_gt_i32_e32 vcc, 1, v48
	v_lshl_add_u64 v[10:11], v[10:11], 0, v[56:57]
	s_or_b64 s[34:35], vcc, s[34:35]
	s_waitcnt vmcnt(0)
	global_store_dwordx4 v[12:13], v[24:27], off nt
	global_store_dwordx4 v[12:13], v[50:53], off offset:1024 nt
	global_store_dwordx4 v[16:17], v[24:27], off nt
	global_store_dwordx4 v[16:17], v[50:53], off offset:1024 nt
	v_lshl_add_u64 v[12:13], v[12:13], 0, v[56:57]
	v_lshl_add_u64 v[16:17], v[16:17], 0, v[56:57]
	s_andn2_b64 exec, exec, s[34:35]
	s_cbranch_execnz .LBB8_215
; %bb.216:                              ;   in Loop: Header=BB8_79 Depth=1
	s_or_b64 exec, exec, s[34:35]
	v_accvgpr_read_b32 v53, a13
	v_accvgpr_read_b32 v24, a26
	;; [unrolled: 1-line block ×3, first 2 shown]
	v_mov_b64_e32 v[26:27], v[0:1]
	v_accvgpr_read_b32 v25, a27
.LBB8_217:                              ;   in Loop: Header=BB8_79 Depth=1
	s_or_b64 exec, exec, s[30:31]
	v_lshlrev_b32_e32 v22, 11, v22
	v_cmp_ne_u32_e32 vcc, v2, v22
	s_mov_b64 s[30:31], 0
	v_mov_b32_e32 v46, 0
                                        ; implicit-def: $vgpr47
                                        ; implicit-def: $vgpr59
                                        ; implicit-def: $vgpr10
	s_and_saveexec_b64 s[62:63], vcc
	s_cbranch_execz .LBB8_227
; %bb.218:                              ;   in Loop: Header=BB8_79 Depth=1
	v_lshlrev_b32_e32 v10, 6, v48
	v_accvgpr_read_b32 v12, a23
	v_sub_u32_e32 v10, v12, v10
	v_ashrrev_i32_e32 v12, 31, v10
	v_lshrrev_b32_e32 v12, 26, v12
	v_add_u32_e32 v12, v10, v12
	v_sub_u32_e32 v11, v2, v22
	v_ashrrev_i32_e32 v13, 6, v12
	v_and_b32_e32 v12, 0xffffffc0, v12
	v_sub_u32_e32 v50, v10, v12
	v_ashrrev_i32_e32 v12, 31, v11
	v_lshrrev_b32_e32 v12, 22, v12
	v_add_u32_e32 v12, v11, v12
	v_and_b32_e32 v51, 0xfffffc00, v12
	v_lshlrev_b32_e32 v10, 4, v50
	v_sub_u32_e32 v49, v11, v51
	v_lshl_add_u32 v10, v13, 10, v10
	v_ashrrev_i32_e32 v16, 10, v12
	v_cmp_lt_i32_e64 s[30:31], 15, v49
	v_sub_u32_e32 v59, v11, v10
	s_nop 0
	v_addc_co_u32_e64 v11, vcc, 0, v16, s[30:31]
	v_sub_u32_e32 v48, v11, v13
	v_cmp_lt_i32_e32 vcc, 15, v59
	s_and_saveexec_b64 s[64:65], vcc
	s_cbranch_execz .LBB8_224
; %bb.219:                              ;   in Loop: Header=BB8_79 Depth=1
	s_trap 2
	ds_read_b64 v[12:13], v0
	ds_read_b128 v[24:27], v0
	v_add_u32_e32 v10, v10, v22
	v_ashrrev_i32_e32 v11, 31, v10
	s_mov_b64 s[66:67], 0
	s_waitcnt lgkmcnt(0)
	v_lshl_add_u64 v[60:61], v[12:13], 0, v[10:11]
	v_lshl_add_u64 v[16:17], v[24:25], 0, v[10:11]
	;; [unrolled: 1-line block ×3, first 2 shown]
.LBB8_220:                              ;   Parent Loop BB8_79 Depth=1
                                        ; =>  This Loop Header: Depth=2
                                        ;       Child Loop BB8_221 Depth 3
	global_load_dwordx4 v[10:13], v[60:61], off nt
	s_mov_b64 s[70:71], -1
	s_mov_b64 s[68:69], 0
	s_waitcnt vmcnt(0)
.LBB8_221:                              ;   Parent Loop BB8_79 Depth=1
                                        ;     Parent Loop BB8_220 Depth=2
                                        ; =>    This Inner Loop Header: Depth=3
	s_cmp_eq_u32 s68, 0
	s_cselect_b64 s[34:35], -1, 0
	s_cmp_eq_u32 s68, 1
	s_cselect_b64 s[36:37], -1, 0
	v_cndmask_b32_e64 v23, 0, 1, s[70:71]
	v_cndmask_b32_e64 v25, v17, v47, s[36:37]
	;; [unrolled: 1-line block ×3, first 2 shown]
	v_cmp_ne_u32_e32 vcc, 1, v23
	global_store_dwordx4 v[24:25], v[10:13], off nt
	v_lshl_add_u64 v[24:25], v[24:25], 0, s[48:49]
	s_mov_b64 s[70:71], 0
	s_mov_b64 s[68:69], 1
	s_and_b64 vcc, exec, vcc
	v_cndmask_b32_e64 v47, v47, v25, s[36:37]
	v_cndmask_b32_e64 v46, v46, v24, s[36:37]
	;; [unrolled: 1-line block ×4, first 2 shown]
	s_cbranch_vccz .LBB8_221
; %bb.222:                              ;   in Loop: Header=BB8_220 Depth=2
	v_accvgpr_read_b32 v10, a18
	v_sub_u32_e32 v59, v59, v55
	v_accvgpr_read_b32 v11, a19
	v_cmp_gt_i32_e32 vcc, 16, v59
	v_lshl_add_u64 v[16:17], v[16:17], 0, v[10:11]
	v_lshl_add_u64 v[46:47], v[46:47], 0, v[10:11]
	;; [unrolled: 1-line block ×3, first 2 shown]
	s_or_b64 s[66:67], vcc, s[66:67]
	v_sub_u32_e32 v48, v48, v34
	s_andn2_b64 exec, exec, s[66:67]
	s_cbranch_execnz .LBB8_220
; %bb.223:                              ;   in Loop: Header=BB8_79 Depth=1
	s_or_b64 exec, exec, s[66:67]
	v_accvgpr_read_b32 v24, a26
	v_accvgpr_read_b32 v61, a2
	v_mov_b32_e32 v60, 1
	v_accvgpr_read_b32 v23, a22
	v_mov_b64_e32 v[26:27], v[0:1]
	v_accvgpr_read_b32 v25, a27
.LBB8_224:                              ;   in Loop: Header=BB8_79 Depth=1
	s_or_b64 exec, exec, s[64:65]
	v_and_b32_e32 v11, 15, v2
	v_cndmask_b32_e64 v47, v49, v11, s[30:31]
	v_cmp_ne_u32_e32 vcc, 0, v47
	s_mov_b64 s[34:35], 0
	v_mov_b32_e32 v46, 0
                                        ; implicit-def: $vgpr59
                                        ; implicit-def: $vgpr10
	s_and_saveexec_b64 s[36:37], vcc
	s_cbranch_execz .LBB8_226
; %bb.225:                              ;   in Loop: Header=BB8_79 Depth=1
	v_sub_u32_e32 v10, v49, v11
	v_cndmask_b32_e64 v10, 0, v10, s[30:31]
	v_cmp_lt_i32_e32 vcc, 0, v48
	v_add3_u32 v46, v51, v22, v10
	s_mov_b64 s[34:35], exec
	v_cndmask_b32_e32 v10, 0, v34, vcc
	v_sub_u32_e32 v10, v10, v48
	v_lshl_add_u32 v59, v10, 6, v50
	v_ashrrev_i32_e32 v10, 31, v59
	v_lshrrev_b32_e32 v10, 26, v10
	v_add_u32_e32 v10, v59, v10
	v_ashrrev_i32_e32 v10, 6, v10
.LBB8_226:                              ;   in Loop: Header=BB8_79 Depth=1
	s_or_b64 exec, exec, s[36:37]
	s_and_b64 s[30:31], s[34:35], exec
.LBB8_227:                              ;   in Loop: Header=BB8_79 Depth=1
	s_or_b64 exec, exec, s[62:63]
.LBB8_228:                              ;   in Loop: Header=BB8_79 Depth=1
	s_and_saveexec_b64 s[36:37], s[30:31]
	s_cbranch_execz .LBB8_239
; %bb.229:                              ;   in Loop: Header=BB8_79 Depth=1
	v_ashrrev_i32_e32 v11, 31, v47
	v_lshrrev_b32_e32 v11, 22, v11
	v_add_u32_e32 v11, v47, v11
	v_ashrrev_i32_e32 v22, 10, v11
	v_sub_u32_e32 v50, v22, v10
	v_cmp_lt_i32_e32 vcc, 0, v50
	v_ashrrev_i32_e32 v51, 31, v59
	s_and_saveexec_b64 s[30:31], vcc
	s_cbranch_execz .LBB8_233
; %bb.230:                              ;   in Loop: Header=BB8_79 Depth=1
	v_lshrrev_b32_e32 v11, 26, v51
	s_trap 2
	v_add_u32_e32 v11, v59, v11
	ds_read_b64 v[16:17], v0
	ds_read_b128 v[24:27], v0
	v_and_b32_e32 v11, 0xffffffc0, v11
	v_sub_u32_e32 v11, v59, v11
	v_lshlrev_b32_e32 v10, 10, v10
	v_add3_u32 v38, v46, v11, v10
	v_ashrrev_i32_e32 v39, 31, v38
	s_waitcnt lgkmcnt(0)
	v_lshl_add_u64 v[16:17], v[16:17], 0, s[50:51]
	v_lshl_add_u64 v[10:11], v[24:25], 0, v[38:39]
	;; [unrolled: 1-line block ×4, first 2 shown]
	s_mov_b64 s[34:35], 0
.LBB8_231:                              ;   Parent Loop BB8_79 Depth=1
                                        ; =>  This Inner Loop Header: Depth=2
	v_add_co_u32_e32 v16, vcc, 0xfffffc40, v60
	flat_load_ubyte v48, v[60:61] nt
	s_nop 0
	v_addc_co_u32_e32 v17, vcc, -1, v61, vcc
	v_add_co_u32_e32 v24, vcc, 0xfffffc80, v60
	flat_load_ubyte v23, v[16:17] nt
	s_nop 0
	v_addc_co_u32_e32 v25, vcc, -1, v61, vcc
	;; [unrolled: 4-line block ×15, first 2 shown]
	flat_load_ubyte v16, v[16:17] nt
	v_sub_u32_e32 v50, v50, v34
	v_cmp_gt_i32_e32 vcc, 1, v50
	s_or_b64 s[34:35], vcc, s[34:35]
	v_lshl_add_u64 v[60:61], v[60:61], 0, v[44:45]
	s_waitcnt vmcnt(0) lgkmcnt(0)
	flat_store_byte v[10:11], v48 offset:960 nt
	flat_store_byte v[10:11], v23 nt
	flat_store_byte v[10:11], v26 offset:64 nt
	flat_store_byte v[10:11], v27 offset:128 nt
	flat_store_byte v[10:11], v30 offset:192 nt
	flat_store_byte v[10:11], v38 offset:256 nt
	flat_store_byte v[10:11], v39 offset:320 nt
	flat_store_byte v[10:11], v49 offset:384 nt
	flat_store_byte v[10:11], v52 offset:448 nt
	flat_store_byte v[10:11], v53 offset:512 nt
	flat_store_byte v[10:11], v54 offset:576 nt
	flat_store_byte v[10:11], v55 offset:640 nt
	flat_store_byte v[10:11], v40 offset:704 nt
	flat_store_byte v[10:11], v41 offset:768 nt
	flat_store_byte v[10:11], v24 offset:832 nt
	flat_store_byte v[10:11], v16 offset:896 nt
	flat_store_byte v[12:13], v23 nt
	flat_store_byte v[12:13], v26 offset:64 nt
	flat_store_byte v[12:13], v27 offset:128 nt
	;; [unrolled: 1-line block ×15, first 2 shown]
	v_lshl_add_u64 v[10:11], v[10:11], 0, v[44:45]
	v_lshl_add_u64 v[12:13], v[12:13], 0, v[44:45]
	s_andn2_b64 exec, exec, s[34:35]
	s_cbranch_execnz .LBB8_231
; %bb.232:                              ;   in Loop: Header=BB8_79 Depth=1
	s_or_b64 exec, exec, s[34:35]
	v_accvgpr_read_b32 v41, a11
	v_accvgpr_read_b32 v53, a13
	;; [unrolled: 1-line block ×9, first 2 shown]
	v_mov_b32_e32 v60, 1
	v_accvgpr_read_b32 v55, a15
	v_accvgpr_read_b32 v38, a16
	;; [unrolled: 1-line block ×3, first 2 shown]
	v_mov_b64_e32 v[26:27], v[0:1]
	v_accvgpr_read_b32 v25, a27
.LBB8_233:                              ;   in Loop: Header=BB8_79 Depth=1
	s_or_b64 exec, exec, s[30:31]
	v_lshlrev_b32_e32 v10, 10, v22
	v_cmp_ne_u32_e32 vcc, v47, v10
	s_and_b64 exec, exec, vcc
	s_cbranch_execz .LBB8_239
; %bb.234:                              ;   in Loop: Header=BB8_79 Depth=1
	v_lshrrev_b32_e32 v11, 26, v51
	v_add_u32_e32 v11, v59, v11
	v_and_b32_e32 v11, 0xffffffc0, v11
	v_sub_u32_e32 v11, v59, v11
	v_lshlrev_b32_e32 v12, 6, v50
	v_sub_u32_e32 v11, v11, v12
	v_add_u32_e32 v10, v10, v11
	v_sub_u32_e32 v22, v47, v10
	v_cmp_lt_i32_e32 vcc, 0, v22
	s_and_b64 exec, exec, vcc
	s_cbranch_execz .LBB8_239
; %bb.235:                              ;   in Loop: Header=BB8_79 Depth=1
	s_trap 2
	ds_read_b64 v[12:13], v0
	ds_read_b128 v[24:27], v0
	v_add_u32_e32 v16, v10, v46
	v_ashrrev_i32_e32 v17, 31, v16
	s_mov_b64 s[62:63], 0
	s_waitcnt lgkmcnt(0)
	v_lshl_add_u64 v[10:11], v[12:13], 0, v[16:17]
	v_lshl_add_u64 v[12:13], v[24:25], 0, v[16:17]
	;; [unrolled: 1-line block ×3, first 2 shown]
	v_mov_b64_e32 v[26:27], v[0:1]
.LBB8_236:                              ;   Parent Loop BB8_79 Depth=1
                                        ; =>  This Loop Header: Depth=2
                                        ;       Child Loop BB8_237 Depth 3
	flat_load_ubyte v48, v[10:11] nt
	s_mov_b64 s[64:65], -1
	s_mov_b64 s[66:67], 0
	s_waitcnt vmcnt(0)
.LBB8_237:                              ;   Parent Loop BB8_79 Depth=1
                                        ;     Parent Loop BB8_236 Depth=2
                                        ; =>    This Inner Loop Header: Depth=3
	s_cmp_eq_u32 s66, 1
	s_cselect_b64 vcc, -1, 0
	v_cndmask_b32_e32 v25, v13, v17, vcc
	s_cmp_eq_u32 s66, 0
	v_cndmask_b32_e32 v24, v12, v16, vcc
	s_waitcnt lgkmcnt(0)
	flat_store_byte v[24:25], v48 nt
	v_lshl_add_u64 v[24:25], v[24:25], 0, 64
	s_cselect_b64 s[30:31], -1, 0
	s_and_b64 s[34:35], exec, s[64:65]
	s_mov_b64 s[66:67], 1
	s_mov_b64 s[64:65], 0
	v_cndmask_b32_e32 v17, v17, v25, vcc
	v_cndmask_b32_e32 v16, v16, v24, vcc
	v_cndmask_b32_e64 v13, v13, v25, s[30:31]
	v_cndmask_b32_e64 v12, v12, v24, s[30:31]
	s_mov_b64 vcc, s[34:35]
	s_cbranch_vccnz .LBB8_237
; %bb.238:                              ;   in Loop: Header=BB8_236 Depth=2
	v_sub_u32_e32 v22, v22, v30
	v_accvgpr_read_b32 v24, a26
	v_cmp_gt_i32_e32 vcc, 1, v22
	v_accvgpr_read_b32 v25, a27
	v_lshl_add_u64 v[12:13], v[12:13], 0, v[38:39]
	v_lshl_add_u64 v[16:17], v[16:17], 0, v[38:39]
	s_or_b64 s[62:63], vcc, s[62:63]
	v_lshl_add_u64 v[10:11], v[24:25], 0, v[10:11]
	s_andn2_b64 exec, exec, s[62:63]
	s_cbranch_execnz .LBB8_236
.LBB8_239:                              ;   in Loop: Header=BB8_79 Depth=1
	s_or_b64 exec, exec, s[36:37]
	v_accvgpr_read_b32 v49, a21
	v_accvgpr_read_b32 v48, a20
	s_branch .LBB8_274
.LBB8_240:                              ;   in Loop: Header=BB8_79 Depth=1
	s_and_saveexec_b64 s[34:35], s[10:11]
	s_cbranch_execnz .LBB8_275
.LBB8_241:                              ;   in Loop: Header=BB8_79 Depth=1
	s_or_b64 exec, exec, s[34:35]
                                        ; implicit-def: $vgpr2
	s_and_saveexec_b64 vcc, s[24:25]
	s_xor_b64 s[34:35], exec, vcc
	s_cbranch_execz .LBB8_381
.LBB8_242:                              ;   in Loop: Header=BB8_79 Depth=1
	v_and_b32_e32 v10, 16, v62
	v_cmp_ne_u32_e32 vcc, 0, v10
	v_and_b32_e32 v2, 16, v62
	s_and_b64 s[30:31], vcc, s[30:31]
	s_and_saveexec_b64 vcc, s[30:31]
	s_cbranch_execz .LBB8_244
; %bb.243:                              ;   in Loop: Header=BB8_79 Depth=1
	v_mov_b32_e32 v2, 1
	buffer_wbl2 sc1
	s_waitcnt vmcnt(0) lgkmcnt(0)
	buffer_inv sc1
.LBB8_244:                              ;   in Loop: Header=BB8_79 Depth=1
	s_or_b64 exec, exec, vcc
	s_andn2_saveexec_b64 s[30:31], s[34:35]
	s_cbranch_execz .LBB8_419
	s_branch .LBB8_382
.LBB8_245:                              ;   in Loop: Header=BB8_79 Depth=1
	s_cbranch_execz .LBB8_274
; %bb.246:                              ;   in Loop: Header=BB8_79 Depth=1
	s_mov_b64 s[30:31], -1
	s_and_saveexec_b64 s[34:35], s[18:19]
	s_cbranch_execz .LBB8_248
; %bb.247:                              ;   in Loop: Header=BB8_79 Depth=1
	ds_read_b32 v10, v0 offset:720
	s_waitcnt lgkmcnt(0)
	v_and_b32_e32 v10, 15, v10
	v_cmp_eq_u32_e32 vcc, 0, v10
	s_orn2_b64 s[30:31], vcc, exec
.LBB8_248:                              ;   in Loop: Header=BB8_79 Depth=1
	s_or_b64 exec, exec, s[34:35]
	s_and_saveexec_b64 s[34:35], s[22:23]
	s_cbranch_execz .LBB8_250
; %bb.249:                              ;   in Loop: Header=BB8_79 Depth=1
	ds_read_b32 v10, v0 offset:784
	s_waitcnt lgkmcnt(0)
	v_and_b32_e32 v10, 15, v10
	v_cmp_eq_u32_e32 vcc, 0, v10
	s_and_b64 vcc, s[30:31], vcc
	s_andn2_b64 s[30:31], s[30:31], exec
	s_and_b64 vcc, vcc, exec
	s_or_b64 s[30:31], s[30:31], vcc
.LBB8_250:                              ;   in Loop: Header=BB8_79 Depth=1
	s_or_b64 exec, exec, s[34:35]
	s_xor_b64 vcc, s[30:31], -1
	v_cndmask_b32_e64 v10, 0, 1, vcc
	s_mov_b64 s[36:37], -1
	;;#ASMSTART
	;;#ASMEND
	v_mov_b32_e32 v22, 0
	v_cmp_ne_u32_e32 vcc, 0, v10
	v_mov_b32_e32 v50, v2
	v_mov_b32_e32 v51, v61
	;; [unrolled: 1-line block ×3, first 2 shown]
	s_cbranch_vccnz .LBB8_264
; %bb.251:                              ;   in Loop: Header=BB8_79 Depth=1
	v_ashrrev_i32_e32 v10, 31, v2
	v_lshrrev_b32_e32 v10, 20, v10
	v_add_u32_e32 v10, v2, v10
	v_ashrrev_i32_e32 v16, 12, v10
	v_sub_u32_e32 v17, v16, v23
	v_cmp_lt_i32_e32 vcc, 0, v17
	s_and_saveexec_b64 s[30:31], vcc
	s_cbranch_execz .LBB8_255
; %bb.252:                              ;   in Loop: Header=BB8_79 Depth=1
	s_trap 2
	ds_read_b64 v[10:11], v0
	s_mov_b64 s[34:35], 0
	s_waitcnt lgkmcnt(0)
	v_mov_b64_e32 v[12:13], v[10:11]
.LBB8_253:                              ;   Parent Loop BB8_79 Depth=1
                                        ; =>  This Inner Loop Header: Depth=2
	v_lshl_add_u64 v[38:39], v[26:27], 0, v[12:13]
	global_load_dwordx4 v[24:27], v[38:39], off nt
	global_load_dwordx4 v[48:51], v[38:39], off offset:1024 nt
	global_load_dwordx4 v[52:55], v[38:39], off offset:2048 nt
	s_nop 0
	global_load_dwordx4 v[38:41], v[38:39], off offset:3072 nt
	v_sub_u32_e32 v17, v17, v34
	v_lshl_add_u64 v[46:47], v[0:1], 0, v[10:11]
	v_cmp_gt_i32_e32 vcc, 1, v17
	v_lshl_add_u64 v[12:13], v[12:13], 0, v[42:43]
	v_lshl_add_u64 v[10:11], v[10:11], 0, v[42:43]
	s_or_b64 s[34:35], vcc, s[34:35]
	s_waitcnt vmcnt(0)
	global_store_dwordx4 v[46:47], v[24:27], off nt
	s_nop 1
	v_mov_b64_e32 v[26:27], v[0:1]
	global_store_dwordx4 v[46:47], v[48:51], off offset:1024 nt
	global_store_dwordx4 v[46:47], v[52:55], off offset:2048 nt
	;; [unrolled: 1-line block ×3, first 2 shown]
	s_andn2_b64 exec, exec, s[34:35]
	s_cbranch_execnz .LBB8_253
; %bb.254:                              ;   in Loop: Header=BB8_79 Depth=1
	s_or_b64 exec, exec, s[34:35]
	v_accvgpr_read_b32 v41, a11
	v_accvgpr_read_b32 v53, a13
	;; [unrolled: 1-line block ×10, first 2 shown]
.LBB8_255:                              ;   in Loop: Header=BB8_79 Depth=1
	s_or_b64 exec, exec, s[30:31]
	v_lshlrev_b32_e32 v16, 12, v16
	v_cmp_ne_u32_e32 vcc, v2, v16
	s_mov_b64 s[36:37], 0
	v_mov_b32_e32 v22, 0
                                        ; implicit-def: $vgpr50
                                        ; implicit-def: $vgpr51
                                        ; implicit-def: $vgpr12
	s_and_saveexec_b64 s[34:35], vcc
	s_cbranch_execz .LBB8_263
; %bb.256:                              ;   in Loop: Header=BB8_79 Depth=1
	v_lshlrev_b32_e32 v11, 6, v17
	v_accvgpr_read_b32 v12, a23
	v_sub_u32_e32 v11, v12, v11
	v_ashrrev_i32_e32 v12, 31, v11
	v_lshrrev_b32_e32 v12, 26, v12
	v_add_u32_e32 v12, v11, v12
	v_ashrrev_i32_e32 v13, 6, v12
	v_and_b32_e32 v12, 0xffffffc0, v12
	v_sub_u32_e32 v17, v11, v12
	v_sub_u32_e32 v10, v2, v16
	v_lshlrev_b32_e32 v11, 4, v17
	v_lshl_add_u32 v12, v13, 10, v11
	v_ashrrev_i32_e32 v11, 31, v10
	v_lshrrev_b32_e32 v11, 22, v11
	v_add_u32_e32 v11, v10, v11
	v_and_b32_e32 v48, 0xfffffc00, v11
	v_sub_u32_e32 v46, v10, v48
	v_ashrrev_i32_e32 v23, 10, v11
	v_cmp_lt_i32_e32 vcc, 15, v46
	v_sub_u32_e32 v22, v10, v12
	s_nop 0
	v_addc_co_u32_e64 v10, s[30:31], 0, v23, vcc
	v_sub_u32_e32 v49, v10, v13
	v_cmp_lt_i32_e64 s[30:31], 15, v22
	s_and_saveexec_b64 s[36:37], s[30:31]
	s_cbranch_execz .LBB8_260
; %bb.257:                              ;   in Loop: Header=BB8_79 Depth=1
	s_trap 2
	ds_read_b64 v[10:11], v0
	v_add_u32_e32 v12, v12, v16
	v_ashrrev_i32_e32 v13, 31, v12
	s_mov_b64 s[62:63], 0
.LBB8_258:                              ;   Parent Loop BB8_79 Depth=1
                                        ; =>  This Inner Loop Header: Depth=2
	s_waitcnt lgkmcnt(0)
	v_lshl_add_u64 v[38:39], v[10:11], 0, v[12:13]
	global_load_dwordx4 v[24:27], v[38:39], off nt
	v_sub_u32_e32 v22, v22, v55
	v_cmp_gt_i32_e64 s[30:31], 16, v22
	v_sub_u32_e32 v49, v49, v34
	v_lshl_add_u64 v[12:13], v[12:13], 0, v[44:45]
	s_or_b64 s[62:63], s[30:31], s[62:63]
	s_waitcnt vmcnt(0)
	global_store_dwordx4 v[38:39], v[24:27], off nt
	s_andn2_b64 exec, exec, s[62:63]
	s_cbranch_execnz .LBB8_258
; %bb.259:                              ;   in Loop: Header=BB8_79 Depth=1
	s_or_b64 exec, exec, s[62:63]
	v_accvgpr_read_b32 v39, a17
	v_accvgpr_read_b32 v24, a26
	;; [unrolled: 1-line block ×3, first 2 shown]
	v_mov_b64_e32 v[26:27], v[0:1]
	v_accvgpr_read_b32 v25, a27
.LBB8_260:                              ;   in Loop: Header=BB8_79 Depth=1
	s_or_b64 exec, exec, s[36:37]
	v_and_b32_e32 v10, 15, v2
	v_cndmask_b32_e32 v50, v46, v10, vcc
	s_mov_b64 s[36:37], 0
	v_mov_b32_e32 v22, 0
	v_cmp_ne_u32_e64 s[30:31], 0, v50
                                        ; implicit-def: $vgpr51
                                        ; implicit-def: $vgpr12
	s_mov_b64 s[62:63], exec
	s_and_b64 s[30:31], s[62:63], s[30:31]
	v_accvgpr_read_b32 v23, a22
	s_mov_b64 exec, s[30:31]
	s_cbranch_execz .LBB8_262
; %bb.261:                              ;   in Loop: Header=BB8_79 Depth=1
	v_sub_u32_e32 v10, v46, v10
	v_cndmask_b32_e32 v10, 0, v10, vcc
	v_cmp_lt_i32_e32 vcc, 0, v49
	v_add3_u32 v22, v48, v16, v10
	s_mov_b64 s[36:37], exec
	v_cndmask_b32_e32 v10, 0, v34, vcc
	v_sub_u32_e32 v10, v10, v49
	v_lshl_add_u32 v51, v10, 6, v17
	v_ashrrev_i32_e32 v10, 31, v51
	v_lshrrev_b32_e32 v10, 26, v10
	v_add_u32_e32 v10, v51, v10
	v_ashrrev_i32_e32 v12, 6, v10
.LBB8_262:                              ;   in Loop: Header=BB8_79 Depth=1
	s_or_b64 exec, exec, s[62:63]
	s_and_b64 s[36:37], s[36:37], exec
.LBB8_263:                              ;   in Loop: Header=BB8_79 Depth=1
	s_or_b64 exec, exec, s[34:35]
.LBB8_264:                              ;   in Loop: Header=BB8_79 Depth=1
	s_mov_b64 s[30:31], exec
	s_and_b64 vcc, s[30:31], s[36:37]
	v_mov_b64_e32 v[46:47], v[24:25]
	s_mov_b64 exec, vcc
	s_cbranch_execz .LBB8_273
; %bb.265:                              ;   in Loop: Header=BB8_79 Depth=1
	v_ashrrev_i32_e32 v10, 31, v50
	v_lshrrev_b32_e32 v10, 22, v10
	v_add_u32_e32 v10, v50, v10
	v_ashrrev_i32_e32 v49, 10, v10
	v_sub_u32_e32 v48, v49, v12
	v_cmp_lt_i32_e32 vcc, 0, v48
	s_and_saveexec_b64 s[34:35], vcc
	s_cbranch_execz .LBB8_269
; %bb.266:                              ;   in Loop: Header=BB8_79 Depth=1
	v_ashrrev_i32_e32 v13, 31, v51
	s_trap 2
	ds_read_b64 v[10:11], v0
	v_lshrrev_b32_e32 v13, 26, v13
	v_add_u32_e32 v13, v51, v13
	v_and_b32_e32 v13, 0xffffffc0, v13
	v_sub_u32_e32 v13, v51, v13
	v_lshlrev_b32_e32 v12, 10, v12
	v_add3_u32 v12, v22, v13, v12
	v_ashrrev_i32_e32 v13, 31, v12
	s_mov_b64 s[36:37], 0
	s_waitcnt lgkmcnt(0)
	v_mov_b64_e32 v[16:17], v[10:11]
.LBB8_267:                              ;   Parent Loop BB8_79 Depth=1
                                        ; =>  This Inner Loop Header: Depth=2
	v_lshl_add_u64 v[24:25], v[12:13], 0, v[16:17]
	flat_load_ubyte v23, v[24:25] nt
	flat_load_ubyte v26, v[24:25] offset:64 nt
	flat_load_ubyte v27, v[24:25] offset:128 nt
	;; [unrolled: 1-line block ×15, first 2 shown]
	v_sub_u32_e32 v48, v48, v34
	v_cmp_gt_i32_e32 vcc, 1, v48
	v_lshl_add_u64 v[24:25], v[12:13], 0, v[10:11]
	v_lshl_add_u64 v[16:17], v[16:17], 0, v[44:45]
	;; [unrolled: 1-line block ×3, first 2 shown]
	s_or_b64 s[36:37], vcc, s[36:37]
	s_waitcnt vmcnt(0) lgkmcnt(0)
	flat_store_byte v[24:25], v23 nt
	flat_store_byte v[24:25], v26 offset:64 nt
	flat_store_byte v[24:25], v27 offset:128 nt
	;; [unrolled: 1-line block ×15, first 2 shown]
	s_andn2_b64 exec, exec, s[36:37]
	s_cbranch_execnz .LBB8_267
; %bb.268:                              ;   in Loop: Header=BB8_79 Depth=1
	s_or_b64 exec, exec, s[36:37]
	v_accvgpr_read_b32 v41, a11
	v_accvgpr_read_b32 v53, a13
	;; [unrolled: 1-line block ×7, first 2 shown]
	v_mov_b32_e32 v60, 1
	v_accvgpr_read_b32 v55, a15
	v_accvgpr_read_b32 v38, a16
	;; [unrolled: 1-line block ×3, first 2 shown]
	v_mov_b64_e32 v[26:27], v[0:1]
.LBB8_269:                              ;   in Loop: Header=BB8_79 Depth=1
	s_or_b64 exec, exec, s[34:35]
	v_lshlrev_b32_e32 v10, 10, v49
	v_cmp_ne_u32_e32 vcc, v50, v10
	v_accvgpr_read_b32 v47, a27
	s_and_b64 vcc, exec, vcc
	v_accvgpr_read_b32 v46, a26
	s_mov_b64 exec, vcc
	s_cbranch_execz .LBB8_273
; %bb.270:                              ;   in Loop: Header=BB8_79 Depth=1
	v_ashrrev_i32_e32 v11, 31, v51
	v_lshrrev_b32_e32 v11, 26, v11
	v_add_u32_e32 v11, v51, v11
	v_and_b32_e32 v11, 0xffffffc0, v11
	v_sub_u32_e32 v11, v51, v11
	v_lshlrev_b32_e32 v12, 6, v48
	v_sub_u32_e32 v11, v11, v12
	v_add_u32_e32 v12, v10, v11
	v_sub_u32_e32 v16, v50, v12
	v_cmp_lt_i32_e32 vcc, 0, v16
	s_and_b64 exec, exec, vcc
	s_cbranch_execz .LBB8_273
; %bb.271:                              ;   in Loop: Header=BB8_79 Depth=1
	s_trap 2
	ds_read_b64 v[10:11], v0
	v_add_u32_e32 v12, v12, v22
	v_ashrrev_i32_e32 v13, 31, v12
	s_mov_b64 s[34:35], 0
.LBB8_272:                              ;   Parent Loop BB8_79 Depth=1
                                        ; =>  This Inner Loop Header: Depth=2
	s_waitcnt lgkmcnt(0)
	v_lshl_add_u64 v[24:25], v[10:11], 0, v[12:13]
	flat_load_ubyte v17, v[24:25] nt
	v_sub_u32_e32 v16, v16, v30
	v_cmp_gt_i32_e32 vcc, 1, v16
	v_lshl_add_u64 v[12:13], v[12:13], 0, v[46:47]
	s_or_b64 s[34:35], vcc, s[34:35]
	s_waitcnt vmcnt(0) lgkmcnt(0)
	flat_store_byte v[24:25], v17 nt
	s_andn2_b64 exec, exec, s[34:35]
	s_cbranch_execnz .LBB8_272
.LBB8_273:                              ;   in Loop: Header=BB8_79 Depth=1
	s_or_b64 exec, exec, s[30:31]
	v_accvgpr_read_b32 v49, a21
	v_accvgpr_read_b32 v48, a20
	v_mov_b64_e32 v[24:25], v[46:47]
.LBB8_274:                              ;   in Loop: Header=BB8_79 Depth=1
	v_cmp_lt_i32_e64 s[30:31], 0, v2
	s_and_saveexec_b64 s[34:35], s[10:11]
	s_cbranch_execz .LBB8_241
.LBB8_275:                              ;   in Loop: Header=BB8_79 Depth=1
	s_and_saveexec_b64 vcc, s[46:47]
	s_xor_b64 s[36:37], exec, vcc
	s_cbranch_execz .LBB8_378
; %bb.276:                              ;   in Loop: Header=BB8_79 Depth=1
	s_and_saveexec_b64 s[62:63], s[16:17]
	s_cbranch_execz .LBB8_377
; %bb.277:                              ;   in Loop: Header=BB8_79 Depth=1
	s_mov_b64 s[66:67], exec
	v_mbcnt_lo_u32_b32 v2, s66, 0
	v_mbcnt_hi_u32_b32 v2, s67, v2
	v_cmp_eq_u32_e32 vcc, 0, v2
	s_waitcnt lgkmcnt(0)
	s_and_saveexec_b64 s[64:65], vcc
	s_cbranch_execz .LBB8_279
; %bb.278:                              ;   in Loop: Header=BB8_79 Depth=1
	s_bcnt1_i32_b64 vcc_lo, s[66:67]
	v_mov_b32_e32 v2, vcc_lo
	ds_add_u64 v0, v[2:3]
	s_trap 2
.LBB8_279:                              ;   in Loop: Header=BB8_79 Depth=1
	s_or_b64 exec, exec, s[64:65]
	s_trap 2
	ds_read_b64 v[10:11], v0
	v_lshl_add_u64 v[28:29], v[28:29], 0, v[34:35]
	s_waitcnt lgkmcnt(0)
	v_cmp_lt_u64_e32 vcc, v[10:11], v[28:29]
	s_and_saveexec_b64 s[64:65], vcc
	s_cbranch_execz .LBB8_376
; %bb.280:                              ;   in Loop: Header=BB8_79 Depth=1
	s_mov_b32 s76, 0
	s_mov_b64 s[66:67], 0
                                        ; implicit-def: $sgpr68_sgpr69
                                        ; implicit-def: $sgpr70_sgpr71
	s_branch .LBB8_282
.LBB8_281:                              ;   in Loop: Header=BB8_282 Depth=2
	s_or_b64 exec, exec, s[74:75]
	s_and_b64 vcc, exec, vcc
	s_or_b64 s[66:67], vcc, s[66:67]
	s_andn2_b64 vcc, s[68:69], exec
	s_and_b64 s[68:69], s[70:71], exec
	s_or_b64 s[68:69], vcc, s[68:69]
	s_andn2_b64 exec, exec, s[66:67]
	s_cbranch_execz .LBB8_374
.LBB8_282:                              ;   Parent Loop BB8_79 Depth=1
                                        ; =>  This Inner Loop Header: Depth=2
	s_add_i32 s76, s76, 1
	s_cmpk_lg_i32 s76, 0x2710
	s_cselect_b64 s[72:73], -1, 0
	s_and_b64 vcc, exec, s[72:73]
                                        ; implicit-def: $sgpr74_sgpr75
	s_cbranch_vccnz .LBB8_284
; %bb.283:                              ;   in Loop: Header=BB8_282 Depth=2
	s_trap 2
	ds_read_b64 v[10:11], v0
	s_andn2_b64 s[72:73], s[72:73], exec
	s_mov_b32 s76, 0
	s_mov_b64 s[74:75], -1
	s_waitcnt vmcnt(0) lgkmcnt(0)
	flat_load_dword v2, v[10:11] sc0 sc1
	s_waitcnt vmcnt(0) lgkmcnt(0)
	buffer_inv sc0 sc1
	v_cmp_eq_u32_e32 vcc, 0, v2
	s_and_b64 vcc, vcc, exec
	s_or_b64 s[72:73], s[72:73], vcc
.LBB8_284:                              ;   in Loop: Header=BB8_282 Depth=2
	s_andn2_b64 s[70:71], s[70:71], exec
	s_and_b64 s[74:75], s[74:75], exec
	s_mov_b64 vcc, -1
	s_or_b64 s[70:71], s[70:71], s[74:75]
	s_and_saveexec_b64 s[74:75], s[72:73]
	s_cbranch_execz .LBB8_281
; %bb.285:                              ;   in Loop: Header=BB8_282 Depth=2
	s_sleep 1
	s_trap 2
	ds_read_b64 v[10:11], v0
	s_andn2_b64 s[70:71], s[70:71], exec
	s_waitcnt lgkmcnt(0)
	v_cmp_ge_u64_e32 vcc, v[10:11], v[28:29]
	s_orn2_b64 vcc, vcc, exec
	s_branch .LBB8_281
.LBB8_286:                              ;   in Loop: Header=BB8_79 Depth=1
	s_or_b64 exec, exec, s[66:67]
	s_and_saveexec_b64 vcc, s[68:69]
	s_xor_b64 vcc, exec, vcc
	s_cbranch_execz .LBB8_288
; %bb.287:                              ;   in Loop: Header=BB8_79 Depth=1
	ds_write_b32 v0, v60
	s_trap 2
.LBB8_288:                              ;   in Loop: Header=BB8_79 Depth=1
	s_or_b64 exec, exec, s[64:65]
	;;#ASMSTART
	s_wakeup
	;;#ASMEND
.LBB8_289:                              ;   in Loop: Header=BB8_79 Depth=1
	s_or_b64 exec, exec, s[36:37]
.LBB8_290:                              ;   in Loop: Header=BB8_79 Depth=1
	s_andn2_saveexec_b64 vcc, s[34:35]
	s_cbranch_execz .LBB8_292
; %bb.291:                              ;   in Loop: Header=BB8_79 Depth=1
	s_waitcnt lgkmcnt(0)
	s_barrier
.LBB8_292:                              ;   in Loop: Header=BB8_79 Depth=1
	s_or_b64 exec, exec, vcc
.LBB8_293:                              ;   in Loop: Header=BB8_79 Depth=1
	s_or_b64 exec, exec, s[30:31]
	s_trap 2
	ds_read_b64 v[12:13], v0
	s_mov_b64 s[30:31], 0
	s_waitcnt lgkmcnt(0)
	v_readfirstlane_b32 vcc_lo, v12
	v_readfirstlane_b32 vcc_hi, v13
	s_cmp_eq_u64 vcc, 0
	s_cselect_b64 vcc, -1, 0
	s_or_b64 vcc, vcc, vcc
	s_and_b64 vcc, exec, vcc
	s_cbranch_vccnz .LBB8_327
; %bb.294:                              ;   in Loop: Header=BB8_79 Depth=1
	s_trap 2
	ds_read_b64 v[12:13], v0
	v_cmp_eq_u32_e64 s[30:31], 0, v10
	s_waitcnt lgkmcnt(0)
	v_cmp_ne_u64_e32 vcc, 0, v[12:13]
	v_cndmask_b32_e64 v2, 0, v58, s[30:31]
	s_cbranch_vccz .LBB8_333
; %bb.295:                              ;   in Loop: Header=BB8_79 Depth=1
	s_mov_b64 s[34:35], -1
	s_and_saveexec_b64 s[30:31], s[22:23]
	s_cbranch_execz .LBB8_297
; %bb.296:                              ;   in Loop: Header=BB8_79 Depth=1
	ds_read_b32 v10, v0 offset:720
	s_waitcnt lgkmcnt(0)
	v_and_b32_e32 v10, 15, v10
	v_cmp_eq_u32_e32 vcc, 0, v10
	s_orn2_b64 s[34:35], vcc, exec
.LBB8_297:                              ;   in Loop: Header=BB8_79 Depth=1
	s_or_b64 exec, exec, s[30:31]
	s_and_saveexec_b64 s[30:31], s[20:21]
	s_cbranch_execz .LBB8_299
; %bb.298:                              ;   in Loop: Header=BB8_79 Depth=1
	ds_read_b32 v10, v0 offset:784
	s_waitcnt lgkmcnt(0)
	v_and_b32_e32 v10, 15, v10
	v_cmp_eq_u32_e32 vcc, 0, v10
	s_and_b64 vcc, s[34:35], vcc
	s_andn2_b64 s[34:35], s[34:35], exec
	s_and_b64 vcc, vcc, exec
	s_or_b64 s[34:35], s[34:35], vcc
.LBB8_299:                              ;   in Loop: Header=BB8_79 Depth=1
	s_or_b64 exec, exec, s[30:31]
	s_xor_b64 vcc, s[34:35], -1
	v_cndmask_b32_e64 v10, 0, 1, vcc
	;;#ASMSTART
	;;#ASMEND
	s_mov_b64 s[30:31], -1
	v_cmp_ne_u32_e32 vcc, 0, v10
	v_mov_b32_e32 v46, 0
	v_mov_b32_e32 v47, v2
	;; [unrolled: 1-line block ×4, first 2 shown]
	s_cbranch_vccnz .LBB8_315
; %bb.300:                              ;   in Loop: Header=BB8_79 Depth=1
	v_ashrrev_i32_e32 v10, 31, v2
	v_lshrrev_b32_e32 v10, 21, v10
	v_add_u32_e32 v10, v2, v10
	v_ashrrev_i32_e32 v22, 11, v10
	v_sub_u32_e32 v48, v22, v23
	v_cmp_lt_i32_e32 vcc, 0, v48
	s_and_saveexec_b64 s[30:31], vcc
	s_cbranch_execz .LBB8_304
; %bb.301:                              ;   in Loop: Header=BB8_79 Depth=1
	s_trap 2
	ds_read_b64 v[10:11], v0
	ds_read_b128 v[24:27], v0
	v_accvgpr_read_b32 v16, a24
	v_accvgpr_read_b32 v17, a25
	s_mov_b64 s[34:35], 0
	s_waitcnt lgkmcnt(0)
	v_lshl_add_u64 v[10:11], v[10:11], 0, v[16:17]
	v_lshl_add_u64 v[12:13], v[24:25], 0, v[16:17]
	;; [unrolled: 1-line block ×3, first 2 shown]
.LBB8_302:                              ;   Parent Loop BB8_79 Depth=1
                                        ; =>  This Inner Loop Header: Depth=2
	global_load_dwordx4 v[24:27], v[10:11], off nt
	global_load_dwordx4 v[50:53], v[10:11], off offset:1024 nt
	v_sub_u32_e32 v48, v48, v34
	v_cmp_gt_i32_e32 vcc, 1, v48
	v_lshl_add_u64 v[10:11], v[10:11], 0, v[56:57]
	s_or_b64 s[34:35], vcc, s[34:35]
	s_waitcnt vmcnt(0)
	global_store_dwordx4 v[12:13], v[24:27], off nt
	global_store_dwordx4 v[12:13], v[50:53], off offset:1024 nt
	global_store_dwordx4 v[16:17], v[24:27], off nt
	global_store_dwordx4 v[16:17], v[50:53], off offset:1024 nt
	v_lshl_add_u64 v[12:13], v[12:13], 0, v[56:57]
	v_lshl_add_u64 v[16:17], v[16:17], 0, v[56:57]
	s_andn2_b64 exec, exec, s[34:35]
	s_cbranch_execnz .LBB8_302
; %bb.303:                              ;   in Loop: Header=BB8_79 Depth=1
	s_or_b64 exec, exec, s[34:35]
	v_accvgpr_read_b32 v53, a13
	v_accvgpr_read_b32 v24, a26
	;; [unrolled: 1-line block ×3, first 2 shown]
	v_mov_b64_e32 v[26:27], v[0:1]
	v_accvgpr_read_b32 v25, a27
.LBB8_304:                              ;   in Loop: Header=BB8_79 Depth=1
	s_or_b64 exec, exec, s[30:31]
	v_lshlrev_b32_e32 v22, 11, v22
	v_cmp_ne_u32_e32 vcc, v2, v22
	s_mov_b64 s[30:31], 0
	v_mov_b32_e32 v46, 0
                                        ; implicit-def: $vgpr47
                                        ; implicit-def: $vgpr59
                                        ; implicit-def: $vgpr10
	s_and_saveexec_b64 s[64:65], vcc
	s_cbranch_execz .LBB8_314
; %bb.305:                              ;   in Loop: Header=BB8_79 Depth=1
	v_lshlrev_b32_e32 v10, 6, v48
	v_accvgpr_read_b32 v12, a23
	v_sub_u32_e32 v10, v12, v10
	v_ashrrev_i32_e32 v12, 31, v10
	v_lshrrev_b32_e32 v12, 26, v12
	v_add_u32_e32 v12, v10, v12
	v_sub_u32_e32 v11, v2, v22
	v_ashrrev_i32_e32 v13, 6, v12
	v_and_b32_e32 v12, 0xffffffc0, v12
	v_sub_u32_e32 v50, v10, v12
	v_ashrrev_i32_e32 v12, 31, v11
	v_lshrrev_b32_e32 v12, 22, v12
	v_add_u32_e32 v12, v11, v12
	v_and_b32_e32 v51, 0xfffffc00, v12
	v_lshlrev_b32_e32 v10, 4, v50
	v_sub_u32_e32 v49, v11, v51
	v_lshl_add_u32 v10, v13, 10, v10
	v_ashrrev_i32_e32 v16, 10, v12
	v_cmp_lt_i32_e64 s[30:31], 15, v49
	v_sub_u32_e32 v59, v11, v10
	s_nop 0
	v_addc_co_u32_e64 v11, vcc, 0, v16, s[30:31]
	v_sub_u32_e32 v48, v11, v13
	v_cmp_lt_i32_e32 vcc, 15, v59
	s_and_saveexec_b64 s[66:67], vcc
	s_cbranch_execz .LBB8_311
; %bb.306:                              ;   in Loop: Header=BB8_79 Depth=1
	s_trap 2
	ds_read_b64 v[12:13], v0
	ds_read_b128 v[24:27], v0
	v_add_u32_e32 v10, v10, v22
	v_ashrrev_i32_e32 v11, 31, v10
	s_mov_b64 s[68:69], 0
	s_waitcnt lgkmcnt(0)
	v_lshl_add_u64 v[60:61], v[12:13], 0, v[10:11]
	v_lshl_add_u64 v[16:17], v[24:25], 0, v[10:11]
	;; [unrolled: 1-line block ×3, first 2 shown]
.LBB8_307:                              ;   Parent Loop BB8_79 Depth=1
                                        ; =>  This Loop Header: Depth=2
                                        ;       Child Loop BB8_308 Depth 3
	global_load_dwordx4 v[10:13], v[60:61], off nt
	s_mov_b64 s[72:73], -1
	s_mov_b64 s[70:71], 0
	s_waitcnt vmcnt(0)
.LBB8_308:                              ;   Parent Loop BB8_79 Depth=1
                                        ;     Parent Loop BB8_307 Depth=2
                                        ; =>    This Inner Loop Header: Depth=3
	s_cmp_eq_u32 s70, 0
	s_cselect_b64 s[34:35], -1, 0
	s_cmp_eq_u32 s70, 1
	s_cselect_b64 s[36:37], -1, 0
	v_cndmask_b32_e64 v23, 0, 1, s[72:73]
	v_cndmask_b32_e64 v25, v17, v47, s[36:37]
	;; [unrolled: 1-line block ×3, first 2 shown]
	v_cmp_ne_u32_e32 vcc, 1, v23
	global_store_dwordx4 v[24:25], v[10:13], off nt
	v_lshl_add_u64 v[24:25], v[24:25], 0, s[48:49]
	s_mov_b64 s[72:73], 0
	s_mov_b64 s[70:71], 1
	s_and_b64 vcc, exec, vcc
	v_cndmask_b32_e64 v47, v47, v25, s[36:37]
	v_cndmask_b32_e64 v46, v46, v24, s[36:37]
	;; [unrolled: 1-line block ×4, first 2 shown]
	s_cbranch_vccz .LBB8_308
; %bb.309:                              ;   in Loop: Header=BB8_307 Depth=2
	v_accvgpr_read_b32 v10, a18
	v_sub_u32_e32 v59, v59, v55
	v_accvgpr_read_b32 v11, a19
	v_cmp_gt_i32_e32 vcc, 16, v59
	v_lshl_add_u64 v[16:17], v[16:17], 0, v[10:11]
	v_lshl_add_u64 v[46:47], v[46:47], 0, v[10:11]
	;; [unrolled: 1-line block ×3, first 2 shown]
	s_or_b64 s[68:69], vcc, s[68:69]
	v_sub_u32_e32 v48, v48, v34
	s_andn2_b64 exec, exec, s[68:69]
	s_cbranch_execnz .LBB8_307
; %bb.310:                              ;   in Loop: Header=BB8_79 Depth=1
	s_or_b64 exec, exec, s[68:69]
	v_accvgpr_read_b32 v24, a26
	v_accvgpr_read_b32 v61, a2
	v_mov_b32_e32 v60, 1
	v_accvgpr_read_b32 v23, a22
	v_mov_b64_e32 v[26:27], v[0:1]
	v_accvgpr_read_b32 v25, a27
.LBB8_311:                              ;   in Loop: Header=BB8_79 Depth=1
	s_or_b64 exec, exec, s[66:67]
	v_and_b32_e32 v11, 15, v2
	v_cndmask_b32_e64 v47, v49, v11, s[30:31]
	v_cmp_ne_u32_e32 vcc, 0, v47
	s_mov_b64 s[34:35], 0
	v_mov_b32_e32 v46, 0
                                        ; implicit-def: $vgpr59
                                        ; implicit-def: $vgpr10
	s_and_saveexec_b64 s[36:37], vcc
	s_cbranch_execz .LBB8_313
; %bb.312:                              ;   in Loop: Header=BB8_79 Depth=1
	v_sub_u32_e32 v10, v49, v11
	v_cndmask_b32_e64 v10, 0, v10, s[30:31]
	v_cmp_lt_i32_e32 vcc, 0, v48
	v_add3_u32 v46, v51, v22, v10
	s_mov_b64 s[34:35], exec
	v_cndmask_b32_e32 v10, 0, v34, vcc
	v_sub_u32_e32 v10, v10, v48
	v_lshl_add_u32 v59, v10, 6, v50
	v_ashrrev_i32_e32 v10, 31, v59
	v_lshrrev_b32_e32 v10, 26, v10
	v_add_u32_e32 v10, v59, v10
	v_ashrrev_i32_e32 v10, 6, v10
.LBB8_313:                              ;   in Loop: Header=BB8_79 Depth=1
	s_or_b64 exec, exec, s[36:37]
	s_and_b64 s[30:31], s[34:35], exec
.LBB8_314:                              ;   in Loop: Header=BB8_79 Depth=1
	s_or_b64 exec, exec, s[64:65]
.LBB8_315:                              ;   in Loop: Header=BB8_79 Depth=1
	s_and_saveexec_b64 s[36:37], s[30:31]
	s_cbranch_execz .LBB8_326
; %bb.316:                              ;   in Loop: Header=BB8_79 Depth=1
	v_ashrrev_i32_e32 v11, 31, v47
	v_lshrrev_b32_e32 v11, 22, v11
	v_add_u32_e32 v11, v47, v11
	v_ashrrev_i32_e32 v22, 10, v11
	v_sub_u32_e32 v50, v22, v10
	v_cmp_lt_i32_e32 vcc, 0, v50
	v_ashrrev_i32_e32 v51, 31, v59
	s_and_saveexec_b64 s[30:31], vcc
	s_cbranch_execz .LBB8_320
; %bb.317:                              ;   in Loop: Header=BB8_79 Depth=1
	v_lshrrev_b32_e32 v11, 26, v51
	s_trap 2
	v_add_u32_e32 v11, v59, v11
	ds_read_b64 v[16:17], v0
	ds_read_b128 v[24:27], v0
	v_and_b32_e32 v11, 0xffffffc0, v11
	v_sub_u32_e32 v11, v59, v11
	v_lshlrev_b32_e32 v10, 10, v10
	v_add3_u32 v38, v46, v11, v10
	v_ashrrev_i32_e32 v39, 31, v38
	s_waitcnt lgkmcnt(0)
	v_lshl_add_u64 v[16:17], v[16:17], 0, s[50:51]
	v_lshl_add_u64 v[10:11], v[24:25], 0, v[38:39]
	;; [unrolled: 1-line block ×4, first 2 shown]
	s_mov_b64 s[34:35], 0
.LBB8_318:                              ;   Parent Loop BB8_79 Depth=1
                                        ; =>  This Inner Loop Header: Depth=2
	v_add_co_u32_e32 v16, vcc, 0xfffffc40, v60
	flat_load_ubyte v48, v[60:61] nt
	s_nop 0
	v_addc_co_u32_e32 v17, vcc, -1, v61, vcc
	v_add_co_u32_e32 v24, vcc, 0xfffffc80, v60
	flat_load_ubyte v23, v[16:17] nt
	s_nop 0
	v_addc_co_u32_e32 v25, vcc, -1, v61, vcc
	;; [unrolled: 4-line block ×15, first 2 shown]
	flat_load_ubyte v16, v[16:17] nt
	v_sub_u32_e32 v50, v50, v34
	v_cmp_gt_i32_e32 vcc, 1, v50
	s_or_b64 s[34:35], vcc, s[34:35]
	v_lshl_add_u64 v[60:61], v[60:61], 0, v[44:45]
	s_waitcnt vmcnt(0) lgkmcnt(0)
	flat_store_byte v[10:11], v48 offset:960 nt
	flat_store_byte v[10:11], v23 nt
	flat_store_byte v[10:11], v26 offset:64 nt
	flat_store_byte v[10:11], v27 offset:128 nt
	;; [unrolled: 1-line block ×14, first 2 shown]
	flat_store_byte v[12:13], v23 nt
	flat_store_byte v[12:13], v26 offset:64 nt
	flat_store_byte v[12:13], v27 offset:128 nt
	;; [unrolled: 1-line block ×15, first 2 shown]
	v_lshl_add_u64 v[10:11], v[10:11], 0, v[44:45]
	v_lshl_add_u64 v[12:13], v[12:13], 0, v[44:45]
	s_andn2_b64 exec, exec, s[34:35]
	s_cbranch_execnz .LBB8_318
; %bb.319:                              ;   in Loop: Header=BB8_79 Depth=1
	s_or_b64 exec, exec, s[34:35]
	v_accvgpr_read_b32 v41, a11
	v_accvgpr_read_b32 v53, a13
	;; [unrolled: 1-line block ×9, first 2 shown]
	v_mov_b32_e32 v60, 1
	v_accvgpr_read_b32 v55, a15
	v_accvgpr_read_b32 v38, a16
	;; [unrolled: 1-line block ×3, first 2 shown]
	v_mov_b64_e32 v[26:27], v[0:1]
	v_accvgpr_read_b32 v25, a27
.LBB8_320:                              ;   in Loop: Header=BB8_79 Depth=1
	s_or_b64 exec, exec, s[30:31]
	v_lshlrev_b32_e32 v10, 10, v22
	v_cmp_ne_u32_e32 vcc, v47, v10
	s_and_b64 exec, exec, vcc
	s_cbranch_execz .LBB8_326
; %bb.321:                              ;   in Loop: Header=BB8_79 Depth=1
	v_lshrrev_b32_e32 v11, 26, v51
	v_add_u32_e32 v11, v59, v11
	v_and_b32_e32 v11, 0xffffffc0, v11
	v_sub_u32_e32 v11, v59, v11
	v_lshlrev_b32_e32 v12, 6, v50
	v_sub_u32_e32 v11, v11, v12
	v_add_u32_e32 v10, v10, v11
	v_sub_u32_e32 v22, v47, v10
	v_cmp_lt_i32_e32 vcc, 0, v22
	s_and_b64 exec, exec, vcc
	s_cbranch_execz .LBB8_326
; %bb.322:                              ;   in Loop: Header=BB8_79 Depth=1
	s_trap 2
	ds_read_b64 v[12:13], v0
	ds_read_b128 v[24:27], v0
	v_add_u32_e32 v16, v10, v46
	v_ashrrev_i32_e32 v17, 31, v16
	s_mov_b64 s[64:65], 0
	s_waitcnt lgkmcnt(0)
	v_lshl_add_u64 v[10:11], v[12:13], 0, v[16:17]
	v_lshl_add_u64 v[12:13], v[24:25], 0, v[16:17]
	;; [unrolled: 1-line block ×3, first 2 shown]
	v_mov_b64_e32 v[26:27], v[0:1]
.LBB8_323:                              ;   Parent Loop BB8_79 Depth=1
                                        ; =>  This Loop Header: Depth=2
                                        ;       Child Loop BB8_324 Depth 3
	flat_load_ubyte v48, v[10:11] nt
	s_mov_b64 s[66:67], -1
	s_mov_b64 s[68:69], 0
	s_waitcnt vmcnt(0)
.LBB8_324:                              ;   Parent Loop BB8_79 Depth=1
                                        ;     Parent Loop BB8_323 Depth=2
                                        ; =>    This Inner Loop Header: Depth=3
	s_cmp_eq_u32 s68, 1
	s_cselect_b64 vcc, -1, 0
	v_cndmask_b32_e32 v25, v13, v17, vcc
	s_cmp_eq_u32 s68, 0
	v_cndmask_b32_e32 v24, v12, v16, vcc
	s_waitcnt lgkmcnt(0)
	flat_store_byte v[24:25], v48 nt
	v_lshl_add_u64 v[24:25], v[24:25], 0, 64
	s_cselect_b64 s[30:31], -1, 0
	s_and_b64 s[34:35], exec, s[66:67]
	s_mov_b64 s[68:69], 1
	s_mov_b64 s[66:67], 0
	v_cndmask_b32_e32 v17, v17, v25, vcc
	v_cndmask_b32_e32 v16, v16, v24, vcc
	v_cndmask_b32_e64 v13, v13, v25, s[30:31]
	v_cndmask_b32_e64 v12, v12, v24, s[30:31]
	s_mov_b64 vcc, s[34:35]
	s_cbranch_vccnz .LBB8_324
; %bb.325:                              ;   in Loop: Header=BB8_323 Depth=2
	v_sub_u32_e32 v22, v22, v30
	v_accvgpr_read_b32 v24, a26
	v_cmp_gt_i32_e32 vcc, 1, v22
	v_accvgpr_read_b32 v25, a27
	v_lshl_add_u64 v[12:13], v[12:13], 0, v[38:39]
	v_lshl_add_u64 v[16:17], v[16:17], 0, v[38:39]
	s_or_b64 s[64:65], vcc, s[64:65]
	v_lshl_add_u64 v[10:11], v[24:25], 0, v[10:11]
	s_andn2_b64 exec, exec, s[64:65]
	s_cbranch_execnz .LBB8_323
.LBB8_326:                              ;   in Loop: Header=BB8_79 Depth=1
	s_or_b64 exec, exec, s[36:37]
	v_accvgpr_read_b32 v49, a21
	v_accvgpr_read_b32 v48, a20
	s_branch .LBB8_362
.LBB8_327:                              ;   in Loop: Header=BB8_79 Depth=1
	s_and_saveexec_b64 s[34:35], s[10:11]
	s_cbranch_execnz .LBB8_363
.LBB8_328:                              ;   in Loop: Header=BB8_79 Depth=1
	s_or_b64 exec, exec, s[34:35]
                                        ; implicit-def: $vgpr2
	s_and_saveexec_b64 vcc, s[24:25]
	s_xor_b64 s[34:35], exec, vcc
	s_cbranch_execz .LBB8_400
.LBB8_329:                              ;   in Loop: Header=BB8_79 Depth=1
	v_and_b32_e32 v10, 16, v62
	v_cmp_ne_u32_e32 vcc, 0, v10
	v_and_b32_e32 v2, 16, v62
	s_and_b64 s[30:31], vcc, s[30:31]
	s_and_saveexec_b64 vcc, s[30:31]
	s_cbranch_execz .LBB8_331
; %bb.330:                              ;   in Loop: Header=BB8_79 Depth=1
	v_mov_b32_e32 v2, 1
	buffer_wbl2 sc1
	s_waitcnt vmcnt(0) lgkmcnt(0)
	buffer_inv sc1
.LBB8_331:                              ;   in Loop: Header=BB8_79 Depth=1
	s_or_b64 exec, exec, vcc
	s_andn2_saveexec_b64 s[30:31], s[34:35]
	s_cbranch_execnz .LBB8_401
.LBB8_332:                              ;   in Loop: Header=BB8_79 Depth=1
	s_or_b64 exec, exec, s[30:31]
	v_cmp_ne_u32_e32 vcc, 0, v2
	s_and_saveexec_b64 s[30:31], vcc
	s_cbranch_execnz .LBB8_472
	s_branch .LBB8_475
.LBB8_333:                              ;   in Loop: Header=BB8_79 Depth=1
	s_cbranch_execz .LBB8_362
; %bb.334:                              ;   in Loop: Header=BB8_79 Depth=1
	s_mov_b64 s[30:31], -1
	s_and_saveexec_b64 s[34:35], s[22:23]
	s_cbranch_execz .LBB8_336
; %bb.335:                              ;   in Loop: Header=BB8_79 Depth=1
	ds_read_b32 v10, v0 offset:720
	s_waitcnt lgkmcnt(0)
	v_and_b32_e32 v10, 15, v10
	v_cmp_eq_u32_e32 vcc, 0, v10
	s_orn2_b64 s[30:31], vcc, exec
.LBB8_336:                              ;   in Loop: Header=BB8_79 Depth=1
	s_or_b64 exec, exec, s[34:35]
	s_and_saveexec_b64 s[34:35], s[22:23]
	s_cbranch_execz .LBB8_338
; %bb.337:                              ;   in Loop: Header=BB8_79 Depth=1
	ds_read_b32 v10, v0 offset:784
	s_waitcnt lgkmcnt(0)
	v_and_b32_e32 v10, 15, v10
	v_cmp_eq_u32_e32 vcc, 0, v10
	s_and_b64 vcc, s[30:31], vcc
	s_andn2_b64 s[30:31], s[30:31], exec
	s_and_b64 vcc, vcc, exec
	s_or_b64 s[30:31], s[30:31], vcc
.LBB8_338:                              ;   in Loop: Header=BB8_79 Depth=1
	s_or_b64 exec, exec, s[34:35]
	s_xor_b64 vcc, s[30:31], -1
	v_cndmask_b32_e64 v10, 0, 1, vcc
	s_mov_b64 s[36:37], -1
	;;#ASMSTART
	;;#ASMEND
	v_mov_b32_e32 v22, 0
	v_cmp_ne_u32_e32 vcc, 0, v10
	v_mov_b32_e32 v50, v2
	v_mov_b32_e32 v51, v61
	;; [unrolled: 1-line block ×3, first 2 shown]
	s_cbranch_vccnz .LBB8_352
; %bb.339:                              ;   in Loop: Header=BB8_79 Depth=1
	v_ashrrev_i32_e32 v10, 31, v2
	v_lshrrev_b32_e32 v10, 20, v10
	v_add_u32_e32 v10, v2, v10
	v_ashrrev_i32_e32 v16, 12, v10
	v_sub_u32_e32 v17, v16, v23
	v_cmp_lt_i32_e32 vcc, 0, v17
	s_and_saveexec_b64 s[30:31], vcc
	s_cbranch_execz .LBB8_343
; %bb.340:                              ;   in Loop: Header=BB8_79 Depth=1
	s_trap 2
	ds_read_b64 v[10:11], v0
	s_mov_b64 s[34:35], 0
	s_waitcnt lgkmcnt(0)
	v_mov_b64_e32 v[12:13], v[10:11]
.LBB8_341:                              ;   Parent Loop BB8_79 Depth=1
                                        ; =>  This Inner Loop Header: Depth=2
	v_lshl_add_u64 v[38:39], v[26:27], 0, v[12:13]
	global_load_dwordx4 v[24:27], v[38:39], off nt
	global_load_dwordx4 v[48:51], v[38:39], off offset:1024 nt
	global_load_dwordx4 v[52:55], v[38:39], off offset:2048 nt
	s_nop 0
	global_load_dwordx4 v[38:41], v[38:39], off offset:3072 nt
	v_sub_u32_e32 v17, v17, v34
	v_lshl_add_u64 v[46:47], v[0:1], 0, v[10:11]
	v_cmp_gt_i32_e32 vcc, 1, v17
	v_lshl_add_u64 v[12:13], v[12:13], 0, v[42:43]
	v_lshl_add_u64 v[10:11], v[10:11], 0, v[42:43]
	s_or_b64 s[34:35], vcc, s[34:35]
	s_waitcnt vmcnt(0)
	global_store_dwordx4 v[46:47], v[24:27], off nt
	s_nop 1
	v_mov_b64_e32 v[26:27], v[0:1]
	global_store_dwordx4 v[46:47], v[48:51], off offset:1024 nt
	global_store_dwordx4 v[46:47], v[52:55], off offset:2048 nt
	;; [unrolled: 1-line block ×3, first 2 shown]
	s_andn2_b64 exec, exec, s[34:35]
	s_cbranch_execnz .LBB8_341
; %bb.342:                              ;   in Loop: Header=BB8_79 Depth=1
	s_or_b64 exec, exec, s[34:35]
	v_accvgpr_read_b32 v41, a11
	v_accvgpr_read_b32 v53, a13
	;; [unrolled: 1-line block ×10, first 2 shown]
.LBB8_343:                              ;   in Loop: Header=BB8_79 Depth=1
	s_or_b64 exec, exec, s[30:31]
	v_lshlrev_b32_e32 v16, 12, v16
	v_cmp_ne_u32_e32 vcc, v2, v16
	s_mov_b64 s[36:37], 0
	v_mov_b32_e32 v22, 0
                                        ; implicit-def: $vgpr50
                                        ; implicit-def: $vgpr51
                                        ; implicit-def: $vgpr12
	s_and_saveexec_b64 s[34:35], vcc
	s_cbranch_execz .LBB8_351
; %bb.344:                              ;   in Loop: Header=BB8_79 Depth=1
	v_lshlrev_b32_e32 v11, 6, v17
	v_accvgpr_read_b32 v12, a23
	v_sub_u32_e32 v11, v12, v11
	v_ashrrev_i32_e32 v12, 31, v11
	v_lshrrev_b32_e32 v12, 26, v12
	v_add_u32_e32 v12, v11, v12
	v_ashrrev_i32_e32 v13, 6, v12
	v_and_b32_e32 v12, 0xffffffc0, v12
	v_sub_u32_e32 v17, v11, v12
	v_sub_u32_e32 v10, v2, v16
	v_lshlrev_b32_e32 v11, 4, v17
	v_lshl_add_u32 v12, v13, 10, v11
	v_ashrrev_i32_e32 v11, 31, v10
	v_lshrrev_b32_e32 v11, 22, v11
	v_add_u32_e32 v11, v10, v11
	v_and_b32_e32 v48, 0xfffffc00, v11
	v_sub_u32_e32 v46, v10, v48
	v_ashrrev_i32_e32 v23, 10, v11
	v_cmp_lt_i32_e32 vcc, 15, v46
	v_sub_u32_e32 v22, v10, v12
	s_nop 0
	v_addc_co_u32_e64 v10, s[30:31], 0, v23, vcc
	v_sub_u32_e32 v49, v10, v13
	v_cmp_lt_i32_e64 s[30:31], 15, v22
	s_and_saveexec_b64 s[36:37], s[30:31]
	s_cbranch_execz .LBB8_348
; %bb.345:                              ;   in Loop: Header=BB8_79 Depth=1
	s_trap 2
	ds_read_b64 v[10:11], v0
	v_add_u32_e32 v12, v12, v16
	v_ashrrev_i32_e32 v13, 31, v12
	s_mov_b64 s[64:65], 0
.LBB8_346:                              ;   Parent Loop BB8_79 Depth=1
                                        ; =>  This Inner Loop Header: Depth=2
	s_waitcnt lgkmcnt(0)
	v_lshl_add_u64 v[38:39], v[10:11], 0, v[12:13]
	global_load_dwordx4 v[24:27], v[38:39], off nt
	v_sub_u32_e32 v22, v22, v55
	v_cmp_gt_i32_e64 s[30:31], 16, v22
	v_sub_u32_e32 v49, v49, v34
	v_lshl_add_u64 v[12:13], v[12:13], 0, v[44:45]
	s_or_b64 s[64:65], s[30:31], s[64:65]
	s_waitcnt vmcnt(0)
	global_store_dwordx4 v[38:39], v[24:27], off nt
	s_andn2_b64 exec, exec, s[64:65]
	s_cbranch_execnz .LBB8_346
; %bb.347:                              ;   in Loop: Header=BB8_79 Depth=1
	s_or_b64 exec, exec, s[64:65]
	v_accvgpr_read_b32 v39, a17
	v_accvgpr_read_b32 v24, a26
	v_accvgpr_read_b32 v38, a16
	v_mov_b64_e32 v[26:27], v[0:1]
	v_accvgpr_read_b32 v25, a27
.LBB8_348:                              ;   in Loop: Header=BB8_79 Depth=1
	s_or_b64 exec, exec, s[36:37]
	v_and_b32_e32 v10, 15, v2
	v_cndmask_b32_e32 v50, v46, v10, vcc
	s_mov_b64 s[36:37], 0
	v_mov_b32_e32 v22, 0
	v_cmp_ne_u32_e64 s[30:31], 0, v50
                                        ; implicit-def: $vgpr51
                                        ; implicit-def: $vgpr12
	s_mov_b64 s[64:65], exec
	s_and_b64 s[30:31], s[64:65], s[30:31]
	v_accvgpr_read_b32 v23, a22
	s_mov_b64 exec, s[30:31]
	s_cbranch_execz .LBB8_350
; %bb.349:                              ;   in Loop: Header=BB8_79 Depth=1
	v_sub_u32_e32 v10, v46, v10
	v_cndmask_b32_e32 v10, 0, v10, vcc
	v_cmp_lt_i32_e32 vcc, 0, v49
	v_add3_u32 v22, v48, v16, v10
	s_mov_b64 s[36:37], exec
	v_cndmask_b32_e32 v10, 0, v34, vcc
	v_sub_u32_e32 v10, v10, v49
	v_lshl_add_u32 v51, v10, 6, v17
	v_ashrrev_i32_e32 v10, 31, v51
	v_lshrrev_b32_e32 v10, 26, v10
	v_add_u32_e32 v10, v51, v10
	v_ashrrev_i32_e32 v12, 6, v10
.LBB8_350:                              ;   in Loop: Header=BB8_79 Depth=1
	s_or_b64 exec, exec, s[64:65]
	s_and_b64 s[36:37], s[36:37], exec
.LBB8_351:                              ;   in Loop: Header=BB8_79 Depth=1
	s_or_b64 exec, exec, s[34:35]
.LBB8_352:                              ;   in Loop: Header=BB8_79 Depth=1
	s_mov_b64 s[30:31], exec
	s_and_b64 vcc, s[30:31], s[36:37]
	v_mov_b64_e32 v[46:47], v[24:25]
	s_mov_b64 exec, vcc
	s_cbranch_execz .LBB8_361
; %bb.353:                              ;   in Loop: Header=BB8_79 Depth=1
	v_ashrrev_i32_e32 v10, 31, v50
	v_lshrrev_b32_e32 v10, 22, v10
	v_add_u32_e32 v10, v50, v10
	v_ashrrev_i32_e32 v49, 10, v10
	v_sub_u32_e32 v48, v49, v12
	v_cmp_lt_i32_e32 vcc, 0, v48
	s_and_saveexec_b64 s[34:35], vcc
	s_cbranch_execz .LBB8_357
; %bb.354:                              ;   in Loop: Header=BB8_79 Depth=1
	v_ashrrev_i32_e32 v13, 31, v51
	s_trap 2
	ds_read_b64 v[10:11], v0
	v_lshrrev_b32_e32 v13, 26, v13
	v_add_u32_e32 v13, v51, v13
	v_and_b32_e32 v13, 0xffffffc0, v13
	v_sub_u32_e32 v13, v51, v13
	v_lshlrev_b32_e32 v12, 10, v12
	v_add3_u32 v12, v22, v13, v12
	v_ashrrev_i32_e32 v13, 31, v12
	s_mov_b64 s[36:37], 0
	s_waitcnt lgkmcnt(0)
	v_mov_b64_e32 v[16:17], v[10:11]
.LBB8_355:                              ;   Parent Loop BB8_79 Depth=1
                                        ; =>  This Inner Loop Header: Depth=2
	v_lshl_add_u64 v[24:25], v[12:13], 0, v[16:17]
	flat_load_ubyte v23, v[24:25] nt
	flat_load_ubyte v26, v[24:25] offset:64 nt
	flat_load_ubyte v27, v[24:25] offset:128 nt
	;; [unrolled: 1-line block ×15, first 2 shown]
	v_sub_u32_e32 v48, v48, v34
	v_cmp_gt_i32_e32 vcc, 1, v48
	v_lshl_add_u64 v[24:25], v[12:13], 0, v[10:11]
	v_lshl_add_u64 v[16:17], v[16:17], 0, v[44:45]
	;; [unrolled: 1-line block ×3, first 2 shown]
	s_or_b64 s[36:37], vcc, s[36:37]
	s_waitcnt vmcnt(0) lgkmcnt(0)
	flat_store_byte v[24:25], v23 nt
	flat_store_byte v[24:25], v26 offset:64 nt
	flat_store_byte v[24:25], v27 offset:128 nt
	;; [unrolled: 1-line block ×15, first 2 shown]
	s_andn2_b64 exec, exec, s[36:37]
	s_cbranch_execnz .LBB8_355
; %bb.356:                              ;   in Loop: Header=BB8_79 Depth=1
	s_or_b64 exec, exec, s[36:37]
	v_accvgpr_read_b32 v41, a11
	v_accvgpr_read_b32 v53, a13
	;; [unrolled: 1-line block ×7, first 2 shown]
	v_mov_b32_e32 v60, 1
	v_accvgpr_read_b32 v55, a15
	v_accvgpr_read_b32 v38, a16
	;; [unrolled: 1-line block ×3, first 2 shown]
	v_mov_b64_e32 v[26:27], v[0:1]
.LBB8_357:                              ;   in Loop: Header=BB8_79 Depth=1
	s_or_b64 exec, exec, s[34:35]
	v_lshlrev_b32_e32 v10, 10, v49
	v_cmp_ne_u32_e32 vcc, v50, v10
	v_accvgpr_read_b32 v47, a27
	s_and_b64 vcc, exec, vcc
	v_accvgpr_read_b32 v46, a26
	s_mov_b64 exec, vcc
	s_cbranch_execz .LBB8_361
; %bb.358:                              ;   in Loop: Header=BB8_79 Depth=1
	v_ashrrev_i32_e32 v11, 31, v51
	v_lshrrev_b32_e32 v11, 26, v11
	v_add_u32_e32 v11, v51, v11
	v_and_b32_e32 v11, 0xffffffc0, v11
	v_sub_u32_e32 v11, v51, v11
	v_lshlrev_b32_e32 v12, 6, v48
	v_sub_u32_e32 v11, v11, v12
	v_add_u32_e32 v12, v10, v11
	v_sub_u32_e32 v16, v50, v12
	v_cmp_lt_i32_e32 vcc, 0, v16
	s_and_b64 exec, exec, vcc
	s_cbranch_execz .LBB8_361
; %bb.359:                              ;   in Loop: Header=BB8_79 Depth=1
	s_trap 2
	ds_read_b64 v[10:11], v0
	v_add_u32_e32 v12, v12, v22
	v_ashrrev_i32_e32 v13, 31, v12
	s_mov_b64 s[34:35], 0
.LBB8_360:                              ;   Parent Loop BB8_79 Depth=1
                                        ; =>  This Inner Loop Header: Depth=2
	s_waitcnt lgkmcnt(0)
	v_lshl_add_u64 v[24:25], v[10:11], 0, v[12:13]
	flat_load_ubyte v17, v[24:25] nt
	v_sub_u32_e32 v16, v16, v30
	v_cmp_gt_i32_e32 vcc, 1, v16
	v_lshl_add_u64 v[12:13], v[12:13], 0, v[46:47]
	s_or_b64 s[34:35], vcc, s[34:35]
	s_waitcnt vmcnt(0) lgkmcnt(0)
	flat_store_byte v[24:25], v17 nt
	s_andn2_b64 exec, exec, s[34:35]
	s_cbranch_execnz .LBB8_360
.LBB8_361:                              ;   in Loop: Header=BB8_79 Depth=1
	s_or_b64 exec, exec, s[30:31]
	v_accvgpr_read_b32 v49, a21
	v_accvgpr_read_b32 v48, a20
	v_mov_b64_e32 v[24:25], v[46:47]
.LBB8_362:                              ;   in Loop: Header=BB8_79 Depth=1
	v_cmp_lt_i32_e64 s[30:31], 0, v2
	s_and_saveexec_b64 s[34:35], s[10:11]
	s_cbranch_execz .LBB8_328
.LBB8_363:                              ;   in Loop: Header=BB8_79 Depth=1
	s_and_saveexec_b64 vcc, s[46:47]
	s_xor_b64 s[36:37], exec, vcc
	s_cbranch_execz .LBB8_397
; %bb.364:                              ;   in Loop: Header=BB8_79 Depth=1
	s_and_saveexec_b64 s[64:65], s[16:17]
	s_cbranch_execz .LBB8_396
; %bb.365:                              ;   in Loop: Header=BB8_79 Depth=1
	s_mov_b64 s[68:69], exec
	v_mbcnt_lo_u32_b32 v2, s68, 0
	v_mbcnt_hi_u32_b32 v2, s69, v2
	v_cmp_eq_u32_e32 vcc, 0, v2
	s_waitcnt lgkmcnt(0)
	s_and_saveexec_b64 s[66:67], vcc
	s_cbranch_execz .LBB8_367
; %bb.366:                              ;   in Loop: Header=BB8_79 Depth=1
	s_bcnt1_i32_b64 vcc_lo, s[68:69]
	v_mov_b32_e32 v2, vcc_lo
	ds_add_u64 v0, v[2:3]
	s_trap 2
.LBB8_367:                              ;   in Loop: Header=BB8_79 Depth=1
	s_or_b64 exec, exec, s[66:67]
	s_trap 2
	ds_read_b64 v[10:11], v0
	v_lshl_add_u64 v[28:29], v[28:29], 0, v[34:35]
	s_waitcnt lgkmcnt(0)
	v_cmp_lt_u64_e32 vcc, v[10:11], v[28:29]
	s_and_saveexec_b64 s[66:67], vcc
	s_cbranch_execz .LBB8_395
; %bb.368:                              ;   in Loop: Header=BB8_79 Depth=1
	s_mov_b32 s78, 0
	s_mov_b64 s[68:69], 0
                                        ; implicit-def: $sgpr70_sgpr71
                                        ; implicit-def: $sgpr72_sgpr73
	s_branch .LBB8_370
.LBB8_369:                              ;   in Loop: Header=BB8_370 Depth=2
	s_or_b64 exec, exec, s[76:77]
	s_and_b64 vcc, exec, vcc
	s_or_b64 s[68:69], vcc, s[68:69]
	s_andn2_b64 vcc, s[70:71], exec
	s_and_b64 s[70:71], s[72:73], exec
	s_or_b64 s[70:71], vcc, s[70:71]
	s_andn2_b64 exec, exec, s[68:69]
	s_cbranch_execz .LBB8_393
.LBB8_370:                              ;   Parent Loop BB8_79 Depth=1
                                        ; =>  This Inner Loop Header: Depth=2
	s_add_i32 s78, s78, 1
	s_cmpk_lg_i32 s78, 0x2710
	s_cselect_b64 s[74:75], -1, 0
	s_and_b64 vcc, exec, s[74:75]
                                        ; implicit-def: $sgpr76_sgpr77
	s_cbranch_vccnz .LBB8_372
; %bb.371:                              ;   in Loop: Header=BB8_370 Depth=2
	s_trap 2
	ds_read_b64 v[10:11], v0
	s_andn2_b64 s[74:75], s[74:75], exec
	s_mov_b32 s78, 0
	s_mov_b64 s[76:77], -1
	s_waitcnt vmcnt(0) lgkmcnt(0)
	flat_load_dword v2, v[10:11] sc0 sc1
	s_waitcnt vmcnt(0) lgkmcnt(0)
	buffer_inv sc0 sc1
	v_cmp_eq_u32_e32 vcc, 0, v2
	s_and_b64 vcc, vcc, exec
	s_or_b64 s[74:75], s[74:75], vcc
.LBB8_372:                              ;   in Loop: Header=BB8_370 Depth=2
	s_andn2_b64 s[72:73], s[72:73], exec
	s_and_b64 s[76:77], s[76:77], exec
	s_mov_b64 vcc, -1
	s_or_b64 s[72:73], s[72:73], s[76:77]
	s_and_saveexec_b64 s[76:77], s[74:75]
	s_cbranch_execz .LBB8_369
; %bb.373:                              ;   in Loop: Header=BB8_370 Depth=2
	s_sleep 1
	s_trap 2
	ds_read_b64 v[10:11], v0
	s_andn2_b64 s[72:73], s[72:73], exec
	s_waitcnt lgkmcnt(0)
	v_cmp_ge_u64_e32 vcc, v[10:11], v[28:29]
	s_orn2_b64 vcc, vcc, exec
	s_branch .LBB8_369
.LBB8_374:                              ;   in Loop: Header=BB8_79 Depth=1
	s_or_b64 exec, exec, s[66:67]
	s_and_saveexec_b64 vcc, s[68:69]
	s_xor_b64 vcc, exec, vcc
	s_cbranch_execz .LBB8_376
; %bb.375:                              ;   in Loop: Header=BB8_79 Depth=1
	ds_write_b32 v0, v60
	s_trap 2
.LBB8_376:                              ;   in Loop: Header=BB8_79 Depth=1
	s_or_b64 exec, exec, s[64:65]
	;;#ASMSTART
	s_wakeup
	;;#ASMEND
.LBB8_377:                              ;   in Loop: Header=BB8_79 Depth=1
	s_or_b64 exec, exec, s[62:63]
.LBB8_378:                              ;   in Loop: Header=BB8_79 Depth=1
	s_andn2_saveexec_b64 vcc, s[36:37]
	s_cbranch_execz .LBB8_380
; %bb.379:                              ;   in Loop: Header=BB8_79 Depth=1
	s_waitcnt lgkmcnt(0)
	s_barrier
.LBB8_380:                              ;   in Loop: Header=BB8_79 Depth=1
	s_or_b64 exec, exec, vcc
	s_or_b64 exec, exec, s[34:35]
                                        ; implicit-def: $vgpr2
	s_and_saveexec_b64 vcc, s[24:25]
	s_xor_b64 s[34:35], exec, vcc
	s_cbranch_execnz .LBB8_242
.LBB8_381:                              ;   in Loop: Header=BB8_79 Depth=1
	s_andn2_saveexec_b64 s[30:31], s[34:35]
	s_cbranch_execz .LBB8_419
.LBB8_382:                              ;   in Loop: Header=BB8_79 Depth=1
	s_and_saveexec_b64 vcc, s[46:47]
	s_xor_b64 s[34:35], exec, vcc
	s_cbranch_execz .LBB8_416
; %bb.383:                              ;   in Loop: Header=BB8_79 Depth=1
	s_and_saveexec_b64 s[36:37], s[16:17]
	s_cbranch_execz .LBB8_415
; %bb.384:                              ;   in Loop: Header=BB8_79 Depth=1
	s_mov_b64 s[64:65], exec
	v_mbcnt_lo_u32_b32 v2, s64, 0
	v_mbcnt_hi_u32_b32 v2, s65, v2
	v_cmp_eq_u32_e32 vcc, 0, v2
	;;#ASMSTART
	s_waitcnt lgkmcnt(0) vmcnt(0)
	;;#ASMEND
	s_and_saveexec_b64 s[62:63], vcc
	s_cbranch_execz .LBB8_386
; %bb.385:                              ;   in Loop: Header=BB8_79 Depth=1
	s_bcnt1_i32_b64 vcc_lo, s[64:65]
	v_mov_b32_e32 v2, vcc_lo
	ds_add_u64 v0, v[2:3]
	s_trap 2
.LBB8_386:                              ;   in Loop: Header=BB8_79 Depth=1
	s_or_b64 exec, exec, s[62:63]
	s_trap 2
	ds_read_b64 v[10:11], v0
	v_lshl_add_u64 v[28:29], v[28:29], 0, v[34:35]
	s_waitcnt lgkmcnt(0)
	v_cmp_lt_u64_e32 vcc, v[10:11], v[28:29]
	s_and_saveexec_b64 s[62:63], vcc
	s_cbranch_execz .LBB8_414
; %bb.387:                              ;   in Loop: Header=BB8_79 Depth=1
	s_mov_b32 s74, 0
	s_mov_b64 s[64:65], 0
                                        ; implicit-def: $sgpr66_sgpr67
                                        ; implicit-def: $sgpr68_sgpr69
	s_branch .LBB8_389
.LBB8_388:                              ;   in Loop: Header=BB8_389 Depth=2
	s_or_b64 exec, exec, s[72:73]
	s_and_b64 vcc, exec, vcc
	s_or_b64 s[64:65], vcc, s[64:65]
	s_andn2_b64 vcc, s[66:67], exec
	s_and_b64 s[66:67], s[68:69], exec
	s_or_b64 s[66:67], vcc, s[66:67]
	s_andn2_b64 exec, exec, s[64:65]
	s_cbranch_execz .LBB8_412
.LBB8_389:                              ;   Parent Loop BB8_79 Depth=1
                                        ; =>  This Inner Loop Header: Depth=2
	s_add_i32 s74, s74, 1
	s_cmpk_lg_i32 s74, 0x2710
	s_cselect_b64 s[70:71], -1, 0
	s_and_b64 vcc, exec, s[70:71]
                                        ; implicit-def: $sgpr72_sgpr73
	s_cbranch_vccnz .LBB8_391
; %bb.390:                              ;   in Loop: Header=BB8_389 Depth=2
	s_trap 2
	ds_read_b64 v[10:11], v0
	s_andn2_b64 s[70:71], s[70:71], exec
	s_mov_b32 s74, 0
	s_mov_b64 s[72:73], -1
	s_waitcnt vmcnt(0) lgkmcnt(0)
	flat_load_dword v2, v[10:11] sc0 sc1
	s_waitcnt vmcnt(0) lgkmcnt(0)
	buffer_inv sc0 sc1
	v_cmp_eq_u32_e32 vcc, 0, v2
	s_and_b64 vcc, vcc, exec
	s_or_b64 s[70:71], s[70:71], vcc
.LBB8_391:                              ;   in Loop: Header=BB8_389 Depth=2
	s_andn2_b64 s[68:69], s[68:69], exec
	s_and_b64 s[72:73], s[72:73], exec
	s_mov_b64 vcc, -1
	s_or_b64 s[68:69], s[68:69], s[72:73]
	s_and_saveexec_b64 s[72:73], s[70:71]
	s_cbranch_execz .LBB8_388
; %bb.392:                              ;   in Loop: Header=BB8_389 Depth=2
	s_sleep 1
	s_trap 2
	ds_read_b64 v[10:11], v0
	s_andn2_b64 s[68:69], s[68:69], exec
	s_waitcnt lgkmcnt(0)
	v_cmp_ge_u64_e32 vcc, v[10:11], v[28:29]
	s_orn2_b64 vcc, vcc, exec
	s_branch .LBB8_388
.LBB8_393:                              ;   in Loop: Header=BB8_79 Depth=1
	s_or_b64 exec, exec, s[68:69]
	s_and_saveexec_b64 vcc, s[70:71]
	s_xor_b64 vcc, exec, vcc
	s_cbranch_execz .LBB8_395
; %bb.394:                              ;   in Loop: Header=BB8_79 Depth=1
	ds_write_b32 v0, v60
	s_trap 2
.LBB8_395:                              ;   in Loop: Header=BB8_79 Depth=1
	s_or_b64 exec, exec, s[66:67]
	;;#ASMSTART
	s_wakeup
	;;#ASMEND
.LBB8_396:                              ;   in Loop: Header=BB8_79 Depth=1
	s_or_b64 exec, exec, s[64:65]
.LBB8_397:                              ;   in Loop: Header=BB8_79 Depth=1
	s_andn2_saveexec_b64 vcc, s[36:37]
	s_cbranch_execz .LBB8_399
; %bb.398:                              ;   in Loop: Header=BB8_79 Depth=1
	s_waitcnt lgkmcnt(0)
	s_barrier
.LBB8_399:                              ;   in Loop: Header=BB8_79 Depth=1
	s_or_b64 exec, exec, vcc
	s_or_b64 exec, exec, s[34:35]
                                        ; implicit-def: $vgpr2
	s_and_saveexec_b64 vcc, s[24:25]
	s_xor_b64 s[34:35], exec, vcc
	s_cbranch_execnz .LBB8_329
.LBB8_400:                              ;   in Loop: Header=BB8_79 Depth=1
	s_andn2_saveexec_b64 s[30:31], s[34:35]
	s_cbranch_execz .LBB8_332
.LBB8_401:                              ;   in Loop: Header=BB8_79 Depth=1
	s_and_saveexec_b64 vcc, s[46:47]
	s_xor_b64 s[34:35], exec, vcc
	s_cbranch_execz .LBB8_469
; %bb.402:                              ;   in Loop: Header=BB8_79 Depth=1
	s_and_saveexec_b64 s[36:37], s[16:17]
	s_cbranch_execz .LBB8_468
; %bb.403:                              ;   in Loop: Header=BB8_79 Depth=1
	s_mov_b64 s[66:67], exec
	v_mbcnt_lo_u32_b32 v2, s66, 0
	v_mbcnt_hi_u32_b32 v2, s67, v2
	v_cmp_eq_u32_e32 vcc, 0, v2
	;;#ASMSTART
	s_waitcnt lgkmcnt(0) vmcnt(0)
	;;#ASMEND
	s_and_saveexec_b64 s[64:65], vcc
	s_cbranch_execz .LBB8_405
; %bb.404:                              ;   in Loop: Header=BB8_79 Depth=1
	s_bcnt1_i32_b64 vcc_lo, s[66:67]
	v_mov_b32_e32 v2, vcc_lo
	ds_add_u64 v0, v[2:3]
	s_trap 2
.LBB8_405:                              ;   in Loop: Header=BB8_79 Depth=1
	s_or_b64 exec, exec, s[64:65]
	s_trap 2
	ds_read_b64 v[10:11], v0
	v_lshl_add_u64 v[28:29], v[28:29], 0, v[34:35]
	s_waitcnt lgkmcnt(0)
	v_cmp_lt_u64_e32 vcc, v[10:11], v[28:29]
	s_and_saveexec_b64 s[64:65], vcc
	s_cbranch_execz .LBB8_467
; %bb.406:                              ;   in Loop: Header=BB8_79 Depth=1
	s_mov_b32 s76, 0
	s_mov_b64 s[66:67], 0
                                        ; implicit-def: $sgpr68_sgpr69
                                        ; implicit-def: $sgpr70_sgpr71
	s_branch .LBB8_408
.LBB8_407:                              ;   in Loop: Header=BB8_408 Depth=2
	s_or_b64 exec, exec, s[74:75]
	s_and_b64 vcc, exec, vcc
	s_or_b64 s[66:67], vcc, s[66:67]
	s_andn2_b64 vcc, s[68:69], exec
	s_and_b64 s[68:69], s[70:71], exec
	s_or_b64 s[68:69], vcc, s[68:69]
	s_andn2_b64 exec, exec, s[66:67]
	s_cbranch_execz .LBB8_465
.LBB8_408:                              ;   Parent Loop BB8_79 Depth=1
                                        ; =>  This Inner Loop Header: Depth=2
	s_add_i32 s76, s76, 1
	s_cmpk_lg_i32 s76, 0x2710
	s_cselect_b64 s[72:73], -1, 0
	s_and_b64 vcc, exec, s[72:73]
                                        ; implicit-def: $sgpr74_sgpr75
	s_cbranch_vccnz .LBB8_410
; %bb.409:                              ;   in Loop: Header=BB8_408 Depth=2
	s_trap 2
	ds_read_b64 v[10:11], v0
	s_andn2_b64 s[72:73], s[72:73], exec
	s_mov_b32 s76, 0
	s_mov_b64 s[74:75], -1
	s_waitcnt vmcnt(0) lgkmcnt(0)
	flat_load_dword v2, v[10:11] sc0 sc1
	s_waitcnt vmcnt(0) lgkmcnt(0)
	buffer_inv sc0 sc1
	v_cmp_eq_u32_e32 vcc, 0, v2
	s_and_b64 vcc, vcc, exec
	s_or_b64 s[72:73], s[72:73], vcc
.LBB8_410:                              ;   in Loop: Header=BB8_408 Depth=2
	s_andn2_b64 s[70:71], s[70:71], exec
	s_and_b64 s[74:75], s[74:75], exec
	s_mov_b64 vcc, -1
	s_or_b64 s[70:71], s[70:71], s[74:75]
	s_and_saveexec_b64 s[74:75], s[72:73]
	s_cbranch_execz .LBB8_407
; %bb.411:                              ;   in Loop: Header=BB8_408 Depth=2
	s_sleep 1
	s_trap 2
	ds_read_b64 v[10:11], v0
	s_andn2_b64 s[70:71], s[70:71], exec
	s_waitcnt lgkmcnt(0)
	v_cmp_ge_u64_e32 vcc, v[10:11], v[28:29]
	s_orn2_b64 vcc, vcc, exec
	s_branch .LBB8_407
.LBB8_412:                              ;   in Loop: Header=BB8_79 Depth=1
	s_or_b64 exec, exec, s[64:65]
	s_and_saveexec_b64 vcc, s[66:67]
	s_xor_b64 vcc, exec, vcc
	s_cbranch_execz .LBB8_414
; %bb.413:                              ;   in Loop: Header=BB8_79 Depth=1
	ds_write_b32 v0, v60
	s_trap 2
.LBB8_414:                              ;   in Loop: Header=BB8_79 Depth=1
	s_or_b64 exec, exec, s[62:63]
	;;#ASMSTART
	s_wakeup
	;;#ASMEND
.LBB8_415:                              ;   in Loop: Header=BB8_79 Depth=1
	s_or_b64 exec, exec, s[36:37]
.LBB8_416:                              ;   in Loop: Header=BB8_79 Depth=1
	s_andn2_saveexec_b64 vcc, s[34:35]
	s_cbranch_execz .LBB8_418
; %bb.417:                              ;   in Loop: Header=BB8_79 Depth=1
	;;#ASMSTART
	s_waitcnt lgkmcnt(0) vmcnt(0)
	;;#ASMEND
	s_barrier
.LBB8_418:                              ;   in Loop: Header=BB8_79 Depth=1
	s_or_b64 exec, exec, vcc
	v_and_b32_e32 v2, 16, v62
.LBB8_419:                              ;   in Loop: Header=BB8_79 Depth=1
	s_or_b64 exec, exec, s[30:31]
	v_cmp_ne_u32_e32 vcc, 0, v2
	s_xor_b64 s[30:31], s[12:13], -1
	s_and_b64 s[30:31], vcc, s[30:31]
	s_and_saveexec_b64 vcc, s[30:31]
	s_cbranch_execz .LBB8_421
; %bb.420:                              ;   in Loop: Header=BB8_79 Depth=1
	flat_store_dword v[52:53], v60 sc0 sc1
.LBB8_421:                              ;   in Loop: Header=BB8_79 Depth=1
	s_or_b64 exec, exec, vcc
	v_and_b32_e32 v2, 48, v62
	v_cmp_ne_u32_e32 vcc, 0, v2
	s_and_saveexec_b64 s[30:31], vcc
	s_cbranch_execz .LBB8_423
; %bb.422:                              ;   in Loop: Header=BB8_79 Depth=1
	v_lshl_add_u64 v[8:9], v[8:9], 0, 1
	flat_store_dwordx2 v[20:21], v[8:9] sc0 sc1
.LBB8_423:                              ;   in Loop: Header=BB8_79 Depth=1
	s_or_b64 exec, exec, s[30:31]
	v_mov_b32_e32 v12, v58
.LBB8_424:                              ;   in Loop: Header=BB8_79 Depth=1
	s_or_b64 exec, exec, s[60:61]
	s_mov_b64 vcc, 0
	s_and_saveexec_b64 s[34:35], s[26:27]
	s_cbranch_execz .LBB8_563
; %bb.425:                              ;   in Loop: Header=BB8_79 Depth=1
	v_and_b32_e32 v2, 12, v62
	v_cmp_ne_u32_e32 vcc, 0, v2
	s_mov_b64 s[36:37], -1
	s_and_saveexec_b64 s[30:31], vcc
	s_cbranch_execz .LBB8_437
; %bb.426:                              ;   in Loop: Header=BB8_79 Depth=1
	v_and_b32_e32 v2, 8, v62
	v_lshl_add_u64 v[16:17], v[32:33], 0, v[2:3]
	v_lshl_add_u64 v[10:11], v[8:9], 0, 1
	v_cmp_lt_u64_e32 vcc, v[16:17], v[10:11]
	v_mov_b32_e32 v13, 1
	s_and_saveexec_b64 s[36:37], vcc
	s_cbranch_execz .LBB8_436
; %bb.427:                              ;   in Loop: Header=BB8_79 Depth=1
	s_mov_b64 s[60:61], 0
	v_mov_b32_e32 v13, 0
                                        ; implicit-def: $sgpr62_sgpr63
	s_branch .LBB8_431
.LBB8_428:                              ;   in Loop: Header=BB8_431 Depth=2
	s_or_b64 exec, exec, s[70:71]
	v_mov_b32_e32 v16, 0
	s_orn2_b64 s[68:69], s[68:69], exec
.LBB8_429:                              ;   in Loop: Header=BB8_431 Depth=2
	s_or_b64 exec, exec, s[66:67]
	s_andn2_b64 vcc, s[62:63], exec
	s_and_b64 s[62:63], s[68:69], exec
	s_or_b64 s[62:63], vcc, s[62:63]
	v_mov_b32_e32 v13, v16
.LBB8_430:                              ;   in Loop: Header=BB8_431 Depth=2
	s_or_b64 exec, exec, s[64:65]
	s_waitcnt vmcnt(0) lgkmcnt(0)
	v_lshl_add_u64 v[16:17], v[32:33], 0, v[2:3]
	v_cmp_ge_u64_e32 vcc, v[16:17], v[10:11]
	s_xor_b64 s[64:65], s[62:63], -1
	s_or_b64 vcc, s[64:65], vcc
	s_and_b64 vcc, exec, vcc
	s_or_b64 s[60:61], vcc, s[60:61]
	s_andn2_b64 exec, exec, s[60:61]
	s_cbranch_execz .LBB8_435
.LBB8_431:                              ;   Parent Loop BB8_79 Depth=1
                                        ; =>  This Inner Loop Header: Depth=2
	s_sleep 1
	flat_load_dwordx2 v[32:33], v[20:21] sc0 sc1
	v_and_b32_e32 v16, 64, v62
	v_cmp_eq_u32_e32 vcc, 0, v16
	s_andn2_b64 s[62:63], s[62:63], exec
	s_and_saveexec_b64 s[64:65], vcc
	s_cbranch_execz .LBB8_430
; %bb.432:                              ;   in Loop: Header=BB8_431 Depth=2
	v_add_u32_e32 v16, 1, v13
	v_cmp_lt_i32_e32 vcc, s81, v13
	s_mov_b64 s[68:69], -1
	s_and_saveexec_b64 s[66:67], vcc
	s_cbranch_execz .LBB8_429
; %bb.433:                              ;   in Loop: Header=BB8_431 Depth=2
	s_trap 2
	ds_read_b64 v[16:17], v0
	s_waitcnt vmcnt(0) lgkmcnt(0)
	flat_load_dword v13, v[16:17] sc0 sc1
	s_waitcnt vmcnt(0) lgkmcnt(0)
	buffer_inv sc0 sc1
	v_cmp_ne_u32_e32 vcc, 0, v13
	s_and_saveexec_b64 s[70:71], vcc
	s_cbranch_execz .LBB8_428
; %bb.434:                              ;   in Loop: Header=BB8_431 Depth=2
	v_or_b32_e32 v62, 64, v62
	s_xor_b64 s[68:69], exec, -1
	ds_write_b32 v0, v13
	s_trap 2
	s_branch .LBB8_428
.LBB8_435:                              ;   in Loop: Header=BB8_79 Depth=1
	s_or_b64 exec, exec, s[60:61]
	v_and_b32_e32 v13, 12, v62
.LBB8_436:                              ;   in Loop: Header=BB8_79 Depth=1
	s_or_b64 exec, exec, s[36:37]
	v_cmp_eq_u32_e32 vcc, 0, v13
	s_orn2_b64 s[36:37], vcc, exec
	;;#ASMSTART
	s_wakeup
	;;#ASMEND
.LBB8_437:                              ;   in Loop: Header=BB8_79 Depth=1
	s_or_b64 exec, exec, s[30:31]
	v_sub_u32_e32 v2, v31, v12
	s_xor_b64 vcc, s[36:37], -1
	v_min_i32_e32 v10, v58, v2
	s_and_saveexec_b64 s[36:37], vcc
	s_cbranch_execz .LBB8_453
; %bb.438:                              ;   in Loop: Header=BB8_79 Depth=1
	v_and_b32_e32 v2, 0x108, v62
	v_cmp_ne_u32_e32 vcc, s82, v2
	v_and_b32_e32 v2, 7, v8
	s_and_saveexec_b64 s[30:31], vcc
	s_xor_b64 vcc, exec, s[30:31]
	s_andn2_saveexec_b64 vcc, vcc
	s_cbranch_execz .LBB8_440
; %bb.439:                              ;   in Loop: Header=BB8_79 Depth=1
	v_mad_u64_u32 v[12:13], s[30:31], v2, 24, v[6:7]
	v_ashrrev_i32_e32 v11, 31, v10
	flat_store_dwordx2 v[12:13], v[10:11] offset:8
.LBB8_440:                              ;   in Loop: Header=BB8_79 Depth=1
	s_or_b64 exec, exec, vcc
	v_and_b32_e32 v11, 0x100, v62
	v_cmp_ne_u32_e32 vcc, 0, v11
	s_mov_b64 s[30:31], -1
                                        ; implicit-def: $vgpr12_vgpr13
	s_and_saveexec_b64 s[60:61], vcc
	s_cbranch_execz .LBB8_444
; %bb.441:                              ;   in Loop: Header=BB8_79 Depth=1
	v_mad_u64_u32 v[16:17], vcc, v2, 24, v[6:7]
	v_mov_b32_e32 v12, v17
	v_mad_u64_u32 v[12:13], vcc, v3, 24, v[12:13]
	v_mov_b32_e32 v17, v12
	flat_load_dword v11, v[16:17]
                                        ; implicit-def: $vgpr12_vgpr13
	s_waitcnt vmcnt(0) lgkmcnt(0)
	v_cmp_ne_u32_e32 vcc, 1, v11
	v_cmp_eq_u32_e64 s[30:31], 1, v11
	s_and_saveexec_b64 s[62:63], s[30:31]
	s_cbranch_execz .LBB8_443
; %bb.442:                              ;   in Loop: Header=BB8_79 Depth=1
	flat_load_dword v12, v[16:17] offset:4 sc0 sc1
	s_waitcnt vmcnt(0) lgkmcnt(0)
	v_ashrrev_i32_e32 v13, 31, v12
.LBB8_443:                              ;   in Loop: Header=BB8_79 Depth=1
	s_or_b64 exec, exec, s[62:63]
	s_orn2_b64 s[30:31], vcc, exec
.LBB8_444:                              ;   in Loop: Header=BB8_79 Depth=1
	s_or_b64 exec, exec, s[60:61]
	s_and_saveexec_b64 vcc, s[30:31]
; %bb.445:                              ;   in Loop: Header=BB8_79 Depth=1
	v_accvgpr_read_b32 v13, a9
	v_mul_lo_u32 v11, v3, v54
	v_mul_lo_u32 v16, v2, v13
	v_mad_u64_u32 v[12:13], s[30:31], v2, v54, 0
	v_add3_u32 v13, v13, v16, v11
; %bb.446:                              ;   in Loop: Header=BB8_79 Depth=1
	s_or_b64 exec, exec, vcc
	v_and_b32_e32 v2, 0x2000, v62
	v_lshl_add_u64 v[12:13], v[40:41], 0, v[12:13]
	v_cmp_ne_u32_e32 vcc, 0, v2
	s_trap 2
	ds_write_b64 v0, v[12:13]
	s_and_saveexec_b64 s[30:31], vcc
	s_cbranch_execz .LBB8_448
; %bb.447:                              ;   in Loop: Header=BB8_79 Depth=1
	ds_read_b64 v[12:13], v0 offset:584
	s_waitcnt lgkmcnt(0)
	v_lshl_add_u64 v[12:13], v[12:13], 0, 1
	ds_write_b64 v0, v[12:13] offset:584
.LBB8_448:                              ;   in Loop: Header=BB8_79 Depth=1
	s_or_b64 exec, exec, s[30:31]
	v_lshl_add_u64 v[8:9], v[8:9], 0, 1
	s_or_b64 exec, exec, s[36:37]
	s_and_saveexec_b64 s[30:31], s[10:11]
	s_cbranch_execnz .LBB8_454
.LBB8_449:                              ;   in Loop: Header=BB8_79 Depth=1
	s_or_b64 exec, exec, s[30:31]
                                        ; implicit-def: $vgpr2
	s_and_saveexec_b64 vcc, s[24:25]
	s_xor_b64 s[30:31], exec, vcc
	s_cbranch_execz .LBB8_522
.LBB8_450:                              ;   in Loop: Header=BB8_79 Depth=1
	s_trap 2
	ds_read_b32 v11, v0
	v_cmp_lt_i32_e32 vcc, 0, v10
	v_and_b32_e32 v10, 16, v62
	v_and_b32_e32 v2, 16, v62
	s_waitcnt lgkmcnt(0)
	v_readfirstlane_b32 s36, v11
	s_cmp_eq_u32 s36, 0
	s_cselect_b64 s[36:37], -1, 0
	s_and_b64 s[36:37], vcc, s[36:37]
	v_cmp_ne_u32_e32 vcc, 0, v10
	s_and_b64 s[36:37], vcc, s[36:37]
	s_and_saveexec_b64 vcc, s[36:37]
	s_cbranch_execz .LBB8_452
; %bb.451:                              ;   in Loop: Header=BB8_79 Depth=1
	v_mov_b32_e32 v2, 1
	buffer_wbl2 sc1
	s_waitcnt vmcnt(0)
	buffer_inv sc1
.LBB8_452:                              ;   in Loop: Header=BB8_79 Depth=1
	s_or_b64 exec, exec, vcc
	s_andn2_saveexec_b64 s[30:31], s[30:31]
	s_cbranch_execz .LBB8_560
	s_branch .LBB8_523
.LBB8_453:                              ;   in Loop: Header=BB8_79 Depth=1
	s_or_b64 exec, exec, s[36:37]
	s_and_saveexec_b64 s[30:31], s[10:11]
	s_cbranch_execz .LBB8_449
.LBB8_454:                              ;   in Loop: Header=BB8_79 Depth=1
	s_and_saveexec_b64 vcc, s[46:47]
	s_xor_b64 s[36:37], exec, vcc
	s_cbranch_execz .LBB8_519
; %bb.455:                              ;   in Loop: Header=BB8_79 Depth=1
	s_and_saveexec_b64 s[60:61], s[16:17]
	s_cbranch_execz .LBB8_518
; %bb.456:                              ;   in Loop: Header=BB8_79 Depth=1
	s_mov_b64 s[64:65], exec
	v_mbcnt_lo_u32_b32 v2, s64, 0
	v_mbcnt_hi_u32_b32 v2, s65, v2
	v_cmp_eq_u32_e32 vcc, 0, v2
	s_waitcnt lgkmcnt(0)
	s_and_saveexec_b64 s[62:63], vcc
	s_cbranch_execz .LBB8_458
; %bb.457:                              ;   in Loop: Header=BB8_79 Depth=1
	s_bcnt1_i32_b64 vcc_lo, s[64:65]
	v_mov_b32_e32 v2, vcc_lo
	ds_add_u64 v0, v[2:3]
	s_trap 2
.LBB8_458:                              ;   in Loop: Header=BB8_79 Depth=1
	s_or_b64 exec, exec, s[62:63]
	s_trap 2
	ds_read_b64 v[12:13], v0
	v_lshl_add_u64 v[28:29], v[28:29], 0, v[34:35]
	s_waitcnt lgkmcnt(0)
	v_cmp_lt_u64_e32 vcc, v[12:13], v[28:29]
	s_and_saveexec_b64 s[62:63], vcc
	s_cbranch_execz .LBB8_517
; %bb.459:                              ;   in Loop: Header=BB8_79 Depth=1
	s_mov_b32 s74, 0
	s_mov_b64 s[64:65], 0
                                        ; implicit-def: $sgpr66_sgpr67
                                        ; implicit-def: $sgpr68_sgpr69
	s_branch .LBB8_461
.LBB8_460:                              ;   in Loop: Header=BB8_461 Depth=2
	s_or_b64 exec, exec, s[72:73]
	s_and_b64 vcc, exec, vcc
	s_or_b64 s[64:65], vcc, s[64:65]
	s_andn2_b64 vcc, s[66:67], exec
	s_and_b64 s[66:67], s[68:69], exec
	s_or_b64 s[66:67], vcc, s[66:67]
	s_andn2_b64 exec, exec, s[64:65]
	s_cbranch_execz .LBB8_515
.LBB8_461:                              ;   Parent Loop BB8_79 Depth=1
                                        ; =>  This Inner Loop Header: Depth=2
	s_add_i32 s74, s74, 1
	s_cmpk_lg_i32 s74, 0x2710
	s_cselect_b64 s[70:71], -1, 0
	s_and_b64 vcc, exec, s[70:71]
                                        ; implicit-def: $sgpr72_sgpr73
	s_cbranch_vccnz .LBB8_463
; %bb.462:                              ;   in Loop: Header=BB8_461 Depth=2
	s_trap 2
	ds_read_b64 v[12:13], v0
	s_andn2_b64 s[70:71], s[70:71], exec
	s_mov_b32 s74, 0
	s_mov_b64 s[72:73], -1
	s_waitcnt vmcnt(0) lgkmcnt(0)
	flat_load_dword v2, v[12:13] sc0 sc1
	s_waitcnt vmcnt(0) lgkmcnt(0)
	buffer_inv sc0 sc1
	v_cmp_eq_u32_e32 vcc, 0, v2
	s_and_b64 vcc, vcc, exec
	s_or_b64 s[70:71], s[70:71], vcc
.LBB8_463:                              ;   in Loop: Header=BB8_461 Depth=2
	s_andn2_b64 s[68:69], s[68:69], exec
	s_and_b64 s[72:73], s[72:73], exec
	s_mov_b64 vcc, -1
	s_or_b64 s[68:69], s[68:69], s[72:73]
	s_and_saveexec_b64 s[72:73], s[70:71]
	s_cbranch_execz .LBB8_460
; %bb.464:                              ;   in Loop: Header=BB8_461 Depth=2
	s_sleep 1
	s_trap 2
	ds_read_b64 v[12:13], v0
	s_andn2_b64 s[68:69], s[68:69], exec
	s_waitcnt lgkmcnt(0)
	v_cmp_ge_u64_e32 vcc, v[12:13], v[28:29]
	s_orn2_b64 vcc, vcc, exec
	s_branch .LBB8_460
.LBB8_465:                              ;   in Loop: Header=BB8_79 Depth=1
	s_or_b64 exec, exec, s[66:67]
	s_and_saveexec_b64 vcc, s[68:69]
	s_xor_b64 vcc, exec, vcc
	s_cbranch_execz .LBB8_467
; %bb.466:                              ;   in Loop: Header=BB8_79 Depth=1
	ds_write_b32 v0, v60
	s_trap 2
.LBB8_467:                              ;   in Loop: Header=BB8_79 Depth=1
	s_or_b64 exec, exec, s[64:65]
	;;#ASMSTART
	s_wakeup
	;;#ASMEND
.LBB8_468:                              ;   in Loop: Header=BB8_79 Depth=1
	s_or_b64 exec, exec, s[36:37]
.LBB8_469:                              ;   in Loop: Header=BB8_79 Depth=1
	s_andn2_saveexec_b64 vcc, s[34:35]
	s_cbranch_execz .LBB8_471
; %bb.470:                              ;   in Loop: Header=BB8_79 Depth=1
	;;#ASMSTART
	s_waitcnt lgkmcnt(0) vmcnt(0)
	;;#ASMEND
	s_barrier
.LBB8_471:                              ;   in Loop: Header=BB8_79 Depth=1
	s_or_b64 exec, exec, vcc
	v_and_b32_e32 v2, 16, v62
	s_or_b64 exec, exec, s[30:31]
	v_cmp_ne_u32_e32 vcc, 0, v2
	s_and_saveexec_b64 s[30:31], vcc
	s_cbranch_execz .LBB8_475
.LBB8_472:                              ;   in Loop: Header=BB8_79 Depth=1
	s_and_saveexec_b64 vcc, s[14:15]
	s_cbranch_execz .LBB8_474
; %bb.473:                              ;   in Loop: Header=BB8_79 Depth=1
	flat_store_dword v[52:53], v60 sc0 sc1
.LBB8_474:                              ;   in Loop: Header=BB8_79 Depth=1
	s_or_b64 exec, exec, vcc
	v_lshl_add_u64 v[8:9], v[8:9], 0, 1
	flat_store_dwordx2 v[20:21], v[8:9] sc0 sc1
.LBB8_475:                              ;   in Loop: Header=BB8_79 Depth=1
	s_or_b64 exec, exec, s[30:31]
	v_mov_b32_e32 v2, v58
.LBB8_476:                              ;   in Loop: Header=BB8_79 Depth=1
	s_or_b64 exec, exec, s[62:63]
	s_mov_b64 vcc, 0
	s_mov_b64 s[36:37], s[56:57]
	s_and_saveexec_b64 s[34:35], s[26:27]
	s_cbranch_execz .LBB8_612
; %bb.477:                              ;   in Loop: Header=BB8_79 Depth=1
	v_and_b32_e32 v10, 8, v62
	v_cmp_ne_u32_e32 vcc, 0, v10
	s_mov_b64 s[36:37], -1
	s_and_saveexec_b64 s[30:31], vcc
	s_cbranch_execz .LBB8_489
; %bb.478:                              ;   in Loop: Header=BB8_79 Depth=1
	v_lshl_add_u64 v[12:13], v[32:33], 0, 8
	v_lshl_add_u64 v[10:11], v[8:9], 0, 1
	v_cmp_lt_u64_e32 vcc, v[12:13], v[10:11]
	v_mov_b32_e32 v12, 1
	s_and_saveexec_b64 s[36:37], vcc
	s_cbranch_execz .LBB8_488
; %bb.479:                              ;   in Loop: Header=BB8_79 Depth=1
	s_mov_b64 s[62:63], 0
	v_mov_b32_e32 v12, 0
                                        ; implicit-def: $sgpr64_sgpr65
	s_branch .LBB8_483
.LBB8_480:                              ;   in Loop: Header=BB8_483 Depth=2
	s_or_b64 exec, exec, s[72:73]
	v_mov_b32_e32 v13, 0
	s_orn2_b64 s[70:71], s[70:71], exec
.LBB8_481:                              ;   in Loop: Header=BB8_483 Depth=2
	s_or_b64 exec, exec, s[68:69]
	s_andn2_b64 vcc, s[64:65], exec
	s_and_b64 s[64:65], s[70:71], exec
	s_or_b64 s[64:65], vcc, s[64:65]
	v_mov_b32_e32 v12, v13
.LBB8_482:                              ;   in Loop: Header=BB8_483 Depth=2
	s_or_b64 exec, exec, s[66:67]
	s_waitcnt vmcnt(0) lgkmcnt(0)
	v_lshl_add_u64 v[16:17], v[32:33], 0, 8
	v_cmp_ge_u64_e32 vcc, v[16:17], v[10:11]
	s_xor_b64 s[66:67], s[64:65], -1
	s_or_b64 vcc, s[66:67], vcc
	s_and_b64 vcc, exec, vcc
	s_or_b64 s[62:63], vcc, s[62:63]
	s_andn2_b64 exec, exec, s[62:63]
	s_cbranch_execz .LBB8_487
.LBB8_483:                              ;   Parent Loop BB8_79 Depth=1
                                        ; =>  This Inner Loop Header: Depth=2
	s_sleep 1
	flat_load_dwordx2 v[32:33], v[20:21] sc0 sc1
	v_and_b32_e32 v13, 64, v62
	v_cmp_eq_u32_e32 vcc, 0, v13
	s_andn2_b64 s[64:65], s[64:65], exec
	s_and_saveexec_b64 s[66:67], vcc
	s_cbranch_execz .LBB8_482
; %bb.484:                              ;   in Loop: Header=BB8_483 Depth=2
	v_add_u32_e32 v13, 1, v12
	v_cmp_lt_i32_e32 vcc, s81, v12
	s_mov_b64 s[70:71], -1
	s_and_saveexec_b64 s[68:69], vcc
	s_cbranch_execz .LBB8_481
; %bb.485:                              ;   in Loop: Header=BB8_483 Depth=2
	s_trap 2
	ds_read_b64 v[12:13], v0
	s_waitcnt vmcnt(0) lgkmcnt(0)
	flat_load_dword v12, v[12:13] sc0 sc1
	s_waitcnt vmcnt(0) lgkmcnt(0)
	buffer_inv sc0 sc1
	v_cmp_ne_u32_e32 vcc, 0, v12
	s_and_saveexec_b64 s[72:73], vcc
	s_cbranch_execz .LBB8_480
; %bb.486:                              ;   in Loop: Header=BB8_483 Depth=2
	v_or_b32_e32 v62, 64, v62
	s_xor_b64 s[70:71], exec, -1
	ds_write_b32 v0, v12
	s_trap 2
	s_branch .LBB8_480
.LBB8_487:                              ;   in Loop: Header=BB8_79 Depth=1
	s_or_b64 exec, exec, s[62:63]
	v_and_b32_e32 v12, 8, v62
.LBB8_488:                              ;   in Loop: Header=BB8_79 Depth=1
	s_or_b64 exec, exec, s[36:37]
	v_cmp_eq_u32_e32 vcc, 0, v12
	s_orn2_b64 s[36:37], vcc, exec
	;;#ASMSTART
	s_wakeup
	;;#ASMEND
.LBB8_489:                              ;   in Loop: Header=BB8_79 Depth=1
	s_or_b64 exec, exec, s[30:31]
	v_sub_u32_e32 v2, v31, v2
	s_xor_b64 vcc, s[36:37], -1
	v_min_i32_e32 v10, v58, v2
	s_and_saveexec_b64 s[36:37], vcc
	s_cbranch_execz .LBB8_503
; %bb.490:                              ;   in Loop: Header=BB8_79 Depth=1
	v_and_b32_e32 v2, 0x100, v62
	v_cmp_ne_u32_e32 vcc, 0, v2
	v_and_b32_e32 v2, 7, v8
	s_mov_b64 s[30:31], -1
                                        ; implicit-def: $vgpr12_vgpr13
	s_and_saveexec_b64 s[62:63], vcc
	s_cbranch_execz .LBB8_494
; %bb.491:                              ;   in Loop: Header=BB8_79 Depth=1
	v_mad_u64_u32 v[16:17], vcc, v2, 24, v[6:7]
	flat_load_dword v12, v[16:17]
	v_ashrrev_i32_e32 v11, 31, v10
	flat_store_dwordx2 v[16:17], v[10:11] offset:8
	s_waitcnt vmcnt(0) lgkmcnt(0)
	v_cmp_ne_u32_e32 vcc, 1, v12
	v_cmp_eq_u32_e64 s[30:31], 1, v12
                                        ; implicit-def: $vgpr12_vgpr13
	s_and_saveexec_b64 s[64:65], s[30:31]
	s_cbranch_execz .LBB8_493
; %bb.492:                              ;   in Loop: Header=BB8_79 Depth=1
	flat_load_dword v12, v[16:17] offset:4 sc0 sc1
	s_waitcnt vmcnt(0) lgkmcnt(0)
	v_ashrrev_i32_e32 v13, 31, v12
.LBB8_493:                              ;   in Loop: Header=BB8_79 Depth=1
	s_or_b64 exec, exec, s[64:65]
	s_orn2_b64 s[30:31], vcc, exec
.LBB8_494:                              ;   in Loop: Header=BB8_79 Depth=1
	s_or_b64 exec, exec, s[62:63]
	s_and_saveexec_b64 vcc, s[30:31]
; %bb.495:                              ;   in Loop: Header=BB8_79 Depth=1
	v_mad_i64_i32 v[12:13], s[30:31], v2, v54, 0
; %bb.496:                              ;   in Loop: Header=BB8_79 Depth=1
	s_or_b64 exec, exec, vcc
	v_and_b32_e32 v2, 0x2000, v62
	v_lshl_add_u64 v[12:13], v[40:41], 0, v[12:13]
	v_cmp_ne_u32_e32 vcc, 0, v2
	ds_write_b64 v0, v[12:13] offset:792
	s_and_saveexec_b64 s[30:31], vcc
	s_cbranch_execz .LBB8_498
; %bb.497:                              ;   in Loop: Header=BB8_79 Depth=1
	ds_read_b64 v[12:13], v0 offset:584
	s_waitcnt lgkmcnt(0)
	v_lshl_add_u64 v[12:13], v[12:13], 0, 1
	ds_write_b64 v0, v[12:13] offset:584
.LBB8_498:                              ;   in Loop: Header=BB8_79 Depth=1
	s_or_b64 exec, exec, s[30:31]
	v_lshl_add_u64 v[8:9], v[8:9], 0, 1
	s_or_b64 exec, exec, s[36:37]
	s_and_saveexec_b64 s[30:31], s[10:11]
	s_cbranch_execnz .LBB8_504
.LBB8_499:                              ;   in Loop: Header=BB8_79 Depth=1
	s_or_b64 exec, exec, s[30:31]
                                        ; implicit-def: $vgpr2
	s_and_saveexec_b64 vcc, s[24:25]
	s_xor_b64 s[30:31], exec, vcc
	s_cbranch_execz .LBB8_541
.LBB8_500:                              ;   in Loop: Header=BB8_79 Depth=1
	s_trap 2
	ds_read_b32 v11, v0
	v_cmp_lt_i32_e32 vcc, 0, v10
	v_and_b32_e32 v10, 16, v62
	v_and_b32_e32 v2, 16, v62
	s_waitcnt lgkmcnt(0)
	v_readfirstlane_b32 s36, v11
	s_cmp_eq_u32 s36, 0
	s_cselect_b64 s[36:37], -1, 0
	s_and_b64 s[36:37], vcc, s[36:37]
	v_cmp_ne_u32_e32 vcc, 0, v10
	s_and_b64 s[36:37], vcc, s[36:37]
	s_and_saveexec_b64 vcc, s[36:37]
	s_cbranch_execz .LBB8_502
; %bb.501:                              ;   in Loop: Header=BB8_79 Depth=1
	v_mov_b32_e32 v2, 1
	buffer_wbl2 sc1
	s_waitcnt vmcnt(0)
	buffer_inv sc1
.LBB8_502:                              ;   in Loop: Header=BB8_79 Depth=1
	s_or_b64 exec, exec, vcc
	s_andn2_saveexec_b64 s[30:31], s[30:31]
	s_cbranch_execz .LBB8_609
	s_branch .LBB8_542
.LBB8_503:                              ;   in Loop: Header=BB8_79 Depth=1
	s_or_b64 exec, exec, s[36:37]
	s_and_saveexec_b64 s[30:31], s[10:11]
	s_cbranch_execz .LBB8_499
.LBB8_504:                              ;   in Loop: Header=BB8_79 Depth=1
	s_and_saveexec_b64 vcc, s[46:47]
	s_xor_b64 s[36:37], exec, vcc
	s_cbranch_execz .LBB8_538
; %bb.505:                              ;   in Loop: Header=BB8_79 Depth=1
	s_and_saveexec_b64 s[62:63], s[16:17]
	s_cbranch_execz .LBB8_537
; %bb.506:                              ;   in Loop: Header=BB8_79 Depth=1
	s_mov_b64 s[66:67], exec
	v_mbcnt_lo_u32_b32 v2, s66, 0
	v_mbcnt_hi_u32_b32 v2, s67, v2
	v_cmp_eq_u32_e32 vcc, 0, v2
	s_waitcnt lgkmcnt(0)
	s_and_saveexec_b64 s[64:65], vcc
	s_cbranch_execz .LBB8_508
; %bb.507:                              ;   in Loop: Header=BB8_79 Depth=1
	s_bcnt1_i32_b64 vcc_lo, s[66:67]
	v_mov_b32_e32 v2, vcc_lo
	ds_add_u64 v0, v[2:3]
	s_trap 2
.LBB8_508:                              ;   in Loop: Header=BB8_79 Depth=1
	s_or_b64 exec, exec, s[64:65]
	s_trap 2
	ds_read_b64 v[12:13], v0
	v_lshl_add_u64 v[28:29], v[28:29], 0, v[34:35]
	s_waitcnt lgkmcnt(0)
	v_cmp_lt_u64_e32 vcc, v[12:13], v[28:29]
	s_and_saveexec_b64 s[64:65], vcc
	s_cbranch_execz .LBB8_536
; %bb.509:                              ;   in Loop: Header=BB8_79 Depth=1
	s_mov_b32 s76, 0
	s_mov_b64 s[66:67], 0
                                        ; implicit-def: $sgpr68_sgpr69
                                        ; implicit-def: $sgpr70_sgpr71
	s_branch .LBB8_511
.LBB8_510:                              ;   in Loop: Header=BB8_511 Depth=2
	s_or_b64 exec, exec, s[74:75]
	s_and_b64 vcc, exec, vcc
	s_or_b64 s[66:67], vcc, s[66:67]
	s_andn2_b64 vcc, s[68:69], exec
	s_and_b64 s[68:69], s[70:71], exec
	s_or_b64 s[68:69], vcc, s[68:69]
	s_andn2_b64 exec, exec, s[66:67]
	s_cbranch_execz .LBB8_534
.LBB8_511:                              ;   Parent Loop BB8_79 Depth=1
                                        ; =>  This Inner Loop Header: Depth=2
	s_add_i32 s76, s76, 1
	s_cmpk_lg_i32 s76, 0x2710
	s_cselect_b64 s[72:73], -1, 0
	s_and_b64 vcc, exec, s[72:73]
                                        ; implicit-def: $sgpr74_sgpr75
	s_cbranch_vccnz .LBB8_513
; %bb.512:                              ;   in Loop: Header=BB8_511 Depth=2
	s_trap 2
	ds_read_b64 v[12:13], v0
	s_andn2_b64 s[72:73], s[72:73], exec
	s_mov_b32 s76, 0
	s_mov_b64 s[74:75], -1
	s_waitcnt vmcnt(0) lgkmcnt(0)
	flat_load_dword v2, v[12:13] sc0 sc1
	s_waitcnt vmcnt(0) lgkmcnt(0)
	buffer_inv sc0 sc1
	v_cmp_eq_u32_e32 vcc, 0, v2
	s_and_b64 vcc, vcc, exec
	s_or_b64 s[72:73], s[72:73], vcc
.LBB8_513:                              ;   in Loop: Header=BB8_511 Depth=2
	s_andn2_b64 s[70:71], s[70:71], exec
	s_and_b64 s[74:75], s[74:75], exec
	s_mov_b64 vcc, -1
	s_or_b64 s[70:71], s[70:71], s[74:75]
	s_and_saveexec_b64 s[74:75], s[72:73]
	s_cbranch_execz .LBB8_510
; %bb.514:                              ;   in Loop: Header=BB8_511 Depth=2
	s_sleep 1
	s_trap 2
	ds_read_b64 v[12:13], v0
	s_andn2_b64 s[70:71], s[70:71], exec
	s_waitcnt lgkmcnt(0)
	v_cmp_ge_u64_e32 vcc, v[12:13], v[28:29]
	s_orn2_b64 vcc, vcc, exec
	s_branch .LBB8_510
.LBB8_515:                              ;   in Loop: Header=BB8_79 Depth=1
	s_or_b64 exec, exec, s[64:65]
	s_and_saveexec_b64 vcc, s[66:67]
	s_xor_b64 vcc, exec, vcc
	s_cbranch_execz .LBB8_517
; %bb.516:                              ;   in Loop: Header=BB8_79 Depth=1
	ds_write_b32 v0, v60
	s_trap 2
.LBB8_517:                              ;   in Loop: Header=BB8_79 Depth=1
	s_or_b64 exec, exec, s[62:63]
	;;#ASMSTART
	s_wakeup
	;;#ASMEND
.LBB8_518:                              ;   in Loop: Header=BB8_79 Depth=1
	s_or_b64 exec, exec, s[60:61]
.LBB8_519:                              ;   in Loop: Header=BB8_79 Depth=1
	s_andn2_saveexec_b64 vcc, s[36:37]
	s_cbranch_execz .LBB8_521
; %bb.520:                              ;   in Loop: Header=BB8_79 Depth=1
	s_waitcnt lgkmcnt(0)
	s_barrier
.LBB8_521:                              ;   in Loop: Header=BB8_79 Depth=1
	s_or_b64 exec, exec, vcc
	s_or_b64 exec, exec, s[30:31]
                                        ; implicit-def: $vgpr2
	s_and_saveexec_b64 vcc, s[24:25]
	s_xor_b64 s[30:31], exec, vcc
	s_cbranch_execnz .LBB8_450
.LBB8_522:                              ;   in Loop: Header=BB8_79 Depth=1
	s_andn2_saveexec_b64 s[30:31], s[30:31]
	s_cbranch_execz .LBB8_560
.LBB8_523:                              ;   in Loop: Header=BB8_79 Depth=1
	s_and_saveexec_b64 vcc, s[46:47]
	s_xor_b64 s[36:37], exec, vcc
	s_cbranch_execz .LBB8_557
; %bb.524:                              ;   in Loop: Header=BB8_79 Depth=1
	s_and_saveexec_b64 s[60:61], s[16:17]
	s_cbranch_execz .LBB8_556
; %bb.525:                              ;   in Loop: Header=BB8_79 Depth=1
	s_mov_b64 s[64:65], exec
	v_mbcnt_lo_u32_b32 v2, s64, 0
	v_mbcnt_hi_u32_b32 v2, s65, v2
	v_cmp_eq_u32_e32 vcc, 0, v2
	;;#ASMSTART
	s_waitcnt lgkmcnt(0) vmcnt(0)
	;;#ASMEND
	s_and_saveexec_b64 s[62:63], vcc
	s_cbranch_execz .LBB8_527
; %bb.526:                              ;   in Loop: Header=BB8_79 Depth=1
	s_bcnt1_i32_b64 vcc_lo, s[64:65]
	v_mov_b32_e32 v2, vcc_lo
	ds_add_u64 v0, v[2:3]
	s_trap 2
.LBB8_527:                              ;   in Loop: Header=BB8_79 Depth=1
	s_or_b64 exec, exec, s[62:63]
	s_trap 2
	ds_read_b64 v[10:11], v0
	v_lshl_add_u64 v[28:29], v[28:29], 0, v[34:35]
	s_waitcnt lgkmcnt(0)
	v_cmp_lt_u64_e32 vcc, v[10:11], v[28:29]
	s_and_saveexec_b64 s[62:63], vcc
	s_cbranch_execz .LBB8_555
; %bb.528:                              ;   in Loop: Header=BB8_79 Depth=1
	s_mov_b32 s74, 0
	s_mov_b64 s[64:65], 0
                                        ; implicit-def: $sgpr66_sgpr67
                                        ; implicit-def: $sgpr68_sgpr69
	s_branch .LBB8_530
.LBB8_529:                              ;   in Loop: Header=BB8_530 Depth=2
	s_or_b64 exec, exec, s[72:73]
	s_and_b64 vcc, exec, vcc
	s_or_b64 s[64:65], vcc, s[64:65]
	s_andn2_b64 vcc, s[66:67], exec
	s_and_b64 s[66:67], s[68:69], exec
	s_or_b64 s[66:67], vcc, s[66:67]
	s_andn2_b64 exec, exec, s[64:65]
	s_cbranch_execz .LBB8_553
.LBB8_530:                              ;   Parent Loop BB8_79 Depth=1
                                        ; =>  This Inner Loop Header: Depth=2
	s_add_i32 s74, s74, 1
	s_cmpk_lg_i32 s74, 0x2710
	s_cselect_b64 s[70:71], -1, 0
	s_and_b64 vcc, exec, s[70:71]
                                        ; implicit-def: $sgpr72_sgpr73
	s_cbranch_vccnz .LBB8_532
; %bb.531:                              ;   in Loop: Header=BB8_530 Depth=2
	s_trap 2
	ds_read_b64 v[10:11], v0
	s_andn2_b64 s[70:71], s[70:71], exec
	s_mov_b32 s74, 0
	s_mov_b64 s[72:73], -1
	s_waitcnt vmcnt(0) lgkmcnt(0)
	flat_load_dword v2, v[10:11] sc0 sc1
	s_waitcnt vmcnt(0) lgkmcnt(0)
	buffer_inv sc0 sc1
	v_cmp_eq_u32_e32 vcc, 0, v2
	s_and_b64 vcc, vcc, exec
	s_or_b64 s[70:71], s[70:71], vcc
.LBB8_532:                              ;   in Loop: Header=BB8_530 Depth=2
	s_andn2_b64 s[68:69], s[68:69], exec
	s_and_b64 s[72:73], s[72:73], exec
	s_mov_b64 vcc, -1
	s_or_b64 s[68:69], s[68:69], s[72:73]
	s_and_saveexec_b64 s[72:73], s[70:71]
	s_cbranch_execz .LBB8_529
; %bb.533:                              ;   in Loop: Header=BB8_530 Depth=2
	s_sleep 1
	s_trap 2
	ds_read_b64 v[10:11], v0
	s_andn2_b64 s[68:69], s[68:69], exec
	s_waitcnt lgkmcnt(0)
	v_cmp_ge_u64_e32 vcc, v[10:11], v[28:29]
	s_orn2_b64 vcc, vcc, exec
	s_branch .LBB8_529
.LBB8_534:                              ;   in Loop: Header=BB8_79 Depth=1
	s_or_b64 exec, exec, s[66:67]
	s_and_saveexec_b64 vcc, s[68:69]
	s_xor_b64 vcc, exec, vcc
	s_cbranch_execz .LBB8_536
; %bb.535:                              ;   in Loop: Header=BB8_79 Depth=1
	ds_write_b32 v0, v60
	s_trap 2
.LBB8_536:                              ;   in Loop: Header=BB8_79 Depth=1
	s_or_b64 exec, exec, s[64:65]
	;;#ASMSTART
	s_wakeup
	;;#ASMEND
.LBB8_537:                              ;   in Loop: Header=BB8_79 Depth=1
	s_or_b64 exec, exec, s[62:63]
.LBB8_538:                              ;   in Loop: Header=BB8_79 Depth=1
	s_andn2_saveexec_b64 vcc, s[36:37]
	s_cbranch_execz .LBB8_540
; %bb.539:                              ;   in Loop: Header=BB8_79 Depth=1
	s_waitcnt lgkmcnt(0)
	s_barrier
.LBB8_540:                              ;   in Loop: Header=BB8_79 Depth=1
	s_or_b64 exec, exec, vcc
	s_or_b64 exec, exec, s[30:31]
                                        ; implicit-def: $vgpr2
	s_and_saveexec_b64 vcc, s[24:25]
	s_xor_b64 s[30:31], exec, vcc
	s_cbranch_execnz .LBB8_500
.LBB8_541:                              ;   in Loop: Header=BB8_79 Depth=1
	s_andn2_saveexec_b64 s[30:31], s[30:31]
	s_cbranch_execz .LBB8_609
.LBB8_542:                              ;   in Loop: Header=BB8_79 Depth=1
	s_and_saveexec_b64 vcc, s[46:47]
	s_xor_b64 s[36:37], exec, vcc
	s_cbranch_execz .LBB8_606
; %bb.543:                              ;   in Loop: Header=BB8_79 Depth=1
	s_and_saveexec_b64 s[62:63], s[16:17]
	s_cbranch_execz .LBB8_605
; %bb.544:                              ;   in Loop: Header=BB8_79 Depth=1
	s_mov_b64 s[66:67], exec
	v_mbcnt_lo_u32_b32 v2, s66, 0
	v_mbcnt_hi_u32_b32 v2, s67, v2
	v_cmp_eq_u32_e32 vcc, 0, v2
	;;#ASMSTART
	s_waitcnt lgkmcnt(0) vmcnt(0)
	;;#ASMEND
	s_and_saveexec_b64 s[64:65], vcc
	s_cbranch_execz .LBB8_546
; %bb.545:                              ;   in Loop: Header=BB8_79 Depth=1
	s_bcnt1_i32_b64 vcc_lo, s[66:67]
	v_mov_b32_e32 v2, vcc_lo
	ds_add_u64 v0, v[2:3]
	s_trap 2
.LBB8_546:                              ;   in Loop: Header=BB8_79 Depth=1
	s_or_b64 exec, exec, s[64:65]
	s_trap 2
	ds_read_b64 v[10:11], v0
	v_lshl_add_u64 v[28:29], v[28:29], 0, v[34:35]
	s_waitcnt lgkmcnt(0)
	v_cmp_lt_u64_e32 vcc, v[10:11], v[28:29]
	s_and_saveexec_b64 s[64:65], vcc
	s_cbranch_execz .LBB8_604
; %bb.547:                              ;   in Loop: Header=BB8_79 Depth=1
	s_mov_b32 s76, 0
	s_mov_b64 s[66:67], 0
                                        ; implicit-def: $sgpr68_sgpr69
                                        ; implicit-def: $sgpr70_sgpr71
	s_branch .LBB8_549
.LBB8_548:                              ;   in Loop: Header=BB8_549 Depth=2
	s_or_b64 exec, exec, s[74:75]
	s_and_b64 vcc, exec, vcc
	s_or_b64 s[66:67], vcc, s[66:67]
	s_andn2_b64 vcc, s[68:69], exec
	s_and_b64 s[68:69], s[70:71], exec
	s_or_b64 s[68:69], vcc, s[68:69]
	s_andn2_b64 exec, exec, s[66:67]
	s_cbranch_execz .LBB8_602
.LBB8_549:                              ;   Parent Loop BB8_79 Depth=1
                                        ; =>  This Inner Loop Header: Depth=2
	s_add_i32 s76, s76, 1
	s_cmpk_lg_i32 s76, 0x2710
	s_cselect_b64 s[72:73], -1, 0
	s_and_b64 vcc, exec, s[72:73]
                                        ; implicit-def: $sgpr74_sgpr75
	s_cbranch_vccnz .LBB8_551
; %bb.550:                              ;   in Loop: Header=BB8_549 Depth=2
	s_trap 2
	ds_read_b64 v[10:11], v0
	s_andn2_b64 s[72:73], s[72:73], exec
	s_mov_b32 s76, 0
	s_mov_b64 s[74:75], -1
	s_waitcnt vmcnt(0) lgkmcnt(0)
	flat_load_dword v2, v[10:11] sc0 sc1
	s_waitcnt vmcnt(0) lgkmcnt(0)
	buffer_inv sc0 sc1
	v_cmp_eq_u32_e32 vcc, 0, v2
	s_and_b64 vcc, vcc, exec
	s_or_b64 s[72:73], s[72:73], vcc
.LBB8_551:                              ;   in Loop: Header=BB8_549 Depth=2
	s_andn2_b64 s[70:71], s[70:71], exec
	s_and_b64 s[74:75], s[74:75], exec
	s_mov_b64 vcc, -1
	s_or_b64 s[70:71], s[70:71], s[74:75]
	s_and_saveexec_b64 s[74:75], s[72:73]
	s_cbranch_execz .LBB8_548
; %bb.552:                              ;   in Loop: Header=BB8_549 Depth=2
	s_sleep 1
	s_trap 2
	ds_read_b64 v[10:11], v0
	s_andn2_b64 s[70:71], s[70:71], exec
	s_waitcnt lgkmcnt(0)
	v_cmp_ge_u64_e32 vcc, v[10:11], v[28:29]
	s_orn2_b64 vcc, vcc, exec
	s_branch .LBB8_548
.LBB8_553:                              ;   in Loop: Header=BB8_79 Depth=1
	s_or_b64 exec, exec, s[64:65]
	s_and_saveexec_b64 vcc, s[66:67]
	s_xor_b64 vcc, exec, vcc
	s_cbranch_execz .LBB8_555
; %bb.554:                              ;   in Loop: Header=BB8_79 Depth=1
	ds_write_b32 v0, v60
	s_trap 2
.LBB8_555:                              ;   in Loop: Header=BB8_79 Depth=1
	s_or_b64 exec, exec, s[62:63]
	;;#ASMSTART
	s_wakeup
	;;#ASMEND
.LBB8_556:                              ;   in Loop: Header=BB8_79 Depth=1
	s_or_b64 exec, exec, s[60:61]
.LBB8_557:                              ;   in Loop: Header=BB8_79 Depth=1
	s_andn2_saveexec_b64 vcc, s[36:37]
	s_cbranch_execz .LBB8_559
; %bb.558:                              ;   in Loop: Header=BB8_79 Depth=1
	;;#ASMSTART
	s_waitcnt lgkmcnt(0) vmcnt(0)
	;;#ASMEND
	s_barrier
.LBB8_559:                              ;   in Loop: Header=BB8_79 Depth=1
	s_or_b64 exec, exec, vcc
	v_and_b32_e32 v2, 16, v62
.LBB8_560:                              ;   in Loop: Header=BB8_79 Depth=1
	s_or_b64 exec, exec, s[30:31]
	v_cmp_ne_u32_e32 vcc, 0, v2
	s_xor_b64 s[30:31], s[12:13], -1
	s_and_b64 s[30:31], vcc, s[30:31]
	s_and_saveexec_b64 vcc, s[30:31]
	s_cbranch_execz .LBB8_562
; %bb.561:                              ;   in Loop: Header=BB8_79 Depth=1
	flat_store_dword v[52:53], v60 sc0 sc1
.LBB8_562:                              ;   in Loop: Header=BB8_79 Depth=1
	s_or_b64 exec, exec, vcc
	v_and_b32_e32 v2, 48, v62
	v_cmp_ne_u32_e32 vcc, 0, v2
	s_and_b64 vcc, vcc, exec
.LBB8_563:                              ;   in Loop: Header=BB8_79 Depth=1
	s_or_b64 exec, exec, s[34:35]
	s_and_b64 s[34:35], vcc, exec
                                        ; implicit-def: $vgpr58
                                        ; implicit-def: $vgpr31
                                        ; implicit-def: $vgpr10_vgpr11
.LBB8_564:                              ;   in Loop: Header=BB8_79 Depth=1
	s_andn2_saveexec_b64 s[36:37], s[56:57]
	s_cbranch_execz .LBB8_992
; %bb.565:                              ;   in Loop: Header=BB8_79 Depth=1
	v_mov_b32_e32 v16, 0
	s_and_saveexec_b64 s[56:57], s[28:29]
	s_cbranch_execz .LBB8_842
; %bb.566:                              ;   in Loop: Header=BB8_79 Depth=1
	s_and_saveexec_b64 s[30:31], s[0:1]
	s_cbranch_execz .LBB8_568
; %bb.567:                              ;   in Loop: Header=BB8_79 Depth=1
	s_trap 2
	ds_read_b128 v[24:27], v0
	s_waitcnt lgkmcnt(0)
	v_lshl_add_u64 v[12:13], v[24:25], 0, v[10:11]
	v_accvgpr_read_b32 v24, a26
	v_lshl_add_u64 v[10:11], v[26:27], 0, v[10:11]
	v_cmp_ne_u64_e32 vcc, 0, v[26:27]
	v_accvgpr_read_b32 v25, a27
	v_mov_b64_e32 v[26:27], v[0:1]
	v_cndmask_b32_e32 v11, 0, v11, vcc
	v_cndmask_b32_e32 v10, 0, v10, vcc
	ds_write_b64 v0, v[12:13]
	ds_write_b64 v0, v[10:11]
.LBB8_568:                              ;   in Loop: Header=BB8_79 Depth=1
	s_or_b64 exec, exec, s[30:31]
	v_and_b32_e32 v2, 4, v62
	v_cmp_ne_u32_e32 vcc, 0, v2
	s_mov_b64 s[60:61], -1
	s_and_saveexec_b64 s[30:31], vcc
	s_cbranch_execz .LBB8_578
; %bb.569:                              ;   in Loop: Header=BB8_79 Depth=1
	v_lshl_add_u64 v[10:11], v[8:9], 0, 1
	v_cmp_lt_u64_e32 vcc, v[32:33], v[10:11]
	v_mov_b32_e32 v2, 1
	s_and_saveexec_b64 s[60:61], vcc
	s_cbranch_execz .LBB8_589
; %bb.570:                              ;   in Loop: Header=BB8_79 Depth=1
	s_mov_b64 s[62:63], 0
	v_mov_b32_e32 v2, 0
                                        ; implicit-def: $sgpr64_sgpr65
	s_branch .LBB8_574
.LBB8_571:                              ;   in Loop: Header=BB8_574 Depth=2
	s_or_b64 exec, exec, s[72:73]
	v_mov_b32_e32 v12, 0
	s_orn2_b64 s[70:71], s[70:71], exec
.LBB8_572:                              ;   in Loop: Header=BB8_574 Depth=2
	s_or_b64 exec, exec, s[68:69]
	s_andn2_b64 vcc, s[64:65], exec
	s_and_b64 s[64:65], s[70:71], exec
	s_or_b64 s[64:65], vcc, s[64:65]
	v_mov_b32_e32 v2, v12
.LBB8_573:                              ;   in Loop: Header=BB8_574 Depth=2
	s_or_b64 exec, exec, s[66:67]
	s_waitcnt vmcnt(0) lgkmcnt(0)
	v_cmp_ge_u64_e32 vcc, v[32:33], v[10:11]
	s_xor_b64 s[66:67], s[64:65], -1
	s_or_b64 vcc, s[66:67], vcc
	s_and_b64 vcc, exec, vcc
	s_or_b64 s[62:63], vcc, s[62:63]
	s_andn2_b64 exec, exec, s[62:63]
	s_cbranch_execz .LBB8_588
.LBB8_574:                              ;   Parent Loop BB8_79 Depth=1
                                        ; =>  This Inner Loop Header: Depth=2
	s_sleep 1
	flat_load_dwordx2 v[32:33], v[20:21] sc0 sc1
	v_and_b32_e32 v12, 64, v62
	v_cmp_eq_u32_e32 vcc, 0, v12
	s_andn2_b64 s[64:65], s[64:65], exec
	s_and_saveexec_b64 s[66:67], vcc
	s_cbranch_execz .LBB8_573
; %bb.575:                              ;   in Loop: Header=BB8_574 Depth=2
	v_add_u32_e32 v12, 1, v2
	v_cmp_lt_i32_e32 vcc, s81, v2
	s_mov_b64 s[70:71], -1
	s_and_saveexec_b64 s[68:69], vcc
	s_cbranch_execz .LBB8_572
; %bb.576:                              ;   in Loop: Header=BB8_574 Depth=2
	s_trap 2
	ds_read_b64 v[12:13], v0
	s_waitcnt vmcnt(0) lgkmcnt(0)
	flat_load_dword v2, v[12:13] sc0 sc1
	s_waitcnt vmcnt(0) lgkmcnt(0)
	buffer_inv sc0 sc1
	v_cmp_ne_u32_e32 vcc, 0, v2
	s_and_saveexec_b64 s[72:73], vcc
	s_cbranch_execz .LBB8_571
; %bb.577:                              ;   in Loop: Header=BB8_574 Depth=2
	v_or_b32_e32 v62, 64, v62
	s_xor_b64 s[70:71], exec, -1
	ds_write_b32 v0, v2
	s_trap 2
	s_branch .LBB8_571
.LBB8_578:                              ;   in Loop: Header=BB8_79 Depth=1
	s_or_b64 exec, exec, s[30:31]
	s_xor_b64 vcc, s[60:61], -1
	s_and_saveexec_b64 s[60:61], vcc
	s_cbranch_execz .LBB8_590
.LBB8_579:                              ;   in Loop: Header=BB8_79 Depth=1
	v_and_b32_e32 v2, 0x100, v62
	v_cmp_ne_u32_e32 vcc, 0, v2
	v_and_b32_e32 v2, 7, v8
	s_mov_b64 s[30:31], -1
                                        ; implicit-def: $vgpr10_vgpr11
	s_and_saveexec_b64 s[62:63], vcc
	s_cbranch_execz .LBB8_583
; %bb.580:                              ;   in Loop: Header=BB8_79 Depth=1
	v_mad_u64_u32 v[12:13], vcc, v2, 24, v[6:7]
	flat_load_dword v10, v[12:13]
	s_waitcnt vmcnt(0) lgkmcnt(0)
	v_cmp_ne_u32_e32 vcc, 1, v10
	v_cmp_eq_u32_e64 s[30:31], 1, v10
                                        ; implicit-def: $vgpr10_vgpr11
	s_and_saveexec_b64 s[64:65], s[30:31]
	s_cbranch_execz .LBB8_582
; %bb.581:                              ;   in Loop: Header=BB8_79 Depth=1
	flat_load_dword v10, v[12:13] offset:4 sc0 sc1
	s_waitcnt vmcnt(0) lgkmcnt(0)
	v_ashrrev_i32_e32 v11, 31, v10
.LBB8_582:                              ;   in Loop: Header=BB8_79 Depth=1
	s_or_b64 exec, exec, s[64:65]
	s_orn2_b64 s[30:31], vcc, exec
.LBB8_583:                              ;   in Loop: Header=BB8_79 Depth=1
	s_or_b64 exec, exec, s[62:63]
	s_and_saveexec_b64 vcc, s[30:31]
; %bb.584:                              ;   in Loop: Header=BB8_79 Depth=1
	v_mad_i64_i32 v[10:11], s[30:31], v2, v54, 0
; %bb.585:                              ;   in Loop: Header=BB8_79 Depth=1
	s_or_b64 exec, exec, vcc
	v_and_b32_e32 v2, 0x2000, v62
	v_lshl_add_u64 v[10:11], v[40:41], 0, v[10:11]
	v_cmp_ne_u32_e32 vcc, 0, v2
	ds_write_b64 v0, v[10:11] offset:720
	s_and_saveexec_b64 s[30:31], vcc
	s_cbranch_execz .LBB8_587
; %bb.586:                              ;   in Loop: Header=BB8_79 Depth=1
	ds_read_b64 v[10:11], v0 offset:584
	s_waitcnt lgkmcnt(0)
	v_lshl_add_u64 v[10:11], v[10:11], 0, 1
	ds_write_b64 v0, v[10:11] offset:584
.LBB8_587:                              ;   in Loop: Header=BB8_79 Depth=1
	s_or_b64 exec, exec, s[30:31]
	v_lshl_add_u64 v[8:9], v[8:9], 0, 1
	s_or_b64 exec, exec, s[60:61]
	s_and_saveexec_b64 s[30:31], s[10:11]
	s_cbranch_execz .LBB8_658
	s_branch .LBB8_591
.LBB8_588:                              ;   in Loop: Header=BB8_79 Depth=1
	s_or_b64 exec, exec, s[62:63]
	v_and_b32_e32 v2, 4, v62
.LBB8_589:                              ;   in Loop: Header=BB8_79 Depth=1
	s_or_b64 exec, exec, s[60:61]
	v_cmp_eq_u32_e32 vcc, 0, v2
	s_orn2_b64 s[60:61], vcc, exec
	;;#ASMSTART
	s_wakeup
	;;#ASMEND
	s_or_b64 exec, exec, s[30:31]
	s_xor_b64 vcc, s[60:61], -1
	s_and_saveexec_b64 s[60:61], vcc
	s_cbranch_execnz .LBB8_579
.LBB8_590:                              ;   in Loop: Header=BB8_79 Depth=1
	s_or_b64 exec, exec, s[60:61]
	s_and_saveexec_b64 s[30:31], s[10:11]
	s_cbranch_execz .LBB8_658
.LBB8_591:                              ;   in Loop: Header=BB8_79 Depth=1
	s_and_saveexec_b64 vcc, s[46:47]
	s_xor_b64 s[60:61], exec, vcc
	s_cbranch_execz .LBB8_655
; %bb.592:                              ;   in Loop: Header=BB8_79 Depth=1
	s_and_saveexec_b64 s[62:63], s[16:17]
	s_cbranch_execz .LBB8_654
; %bb.593:                              ;   in Loop: Header=BB8_79 Depth=1
	s_mov_b64 s[66:67], exec
	v_mbcnt_lo_u32_b32 v2, s66, 0
	v_mbcnt_hi_u32_b32 v2, s67, v2
	v_cmp_eq_u32_e32 vcc, 0, v2
	s_waitcnt lgkmcnt(0)
	s_and_saveexec_b64 s[64:65], vcc
	s_cbranch_execz .LBB8_595
; %bb.594:                              ;   in Loop: Header=BB8_79 Depth=1
	s_bcnt1_i32_b64 vcc_lo, s[66:67]
	v_mov_b32_e32 v2, vcc_lo
	ds_add_u64 v0, v[2:3]
	s_trap 2
.LBB8_595:                              ;   in Loop: Header=BB8_79 Depth=1
	s_or_b64 exec, exec, s[64:65]
	s_trap 2
	ds_read_b64 v[10:11], v0
	v_lshl_add_u64 v[28:29], v[28:29], 0, v[34:35]
	s_waitcnt lgkmcnt(0)
	v_cmp_lt_u64_e32 vcc, v[10:11], v[28:29]
	s_and_saveexec_b64 s[64:65], vcc
	s_cbranch_execz .LBB8_653
; %bb.596:                              ;   in Loop: Header=BB8_79 Depth=1
	s_mov_b32 s76, 0
	s_mov_b64 s[66:67], 0
                                        ; implicit-def: $sgpr68_sgpr69
                                        ; implicit-def: $sgpr70_sgpr71
	s_branch .LBB8_598
.LBB8_597:                              ;   in Loop: Header=BB8_598 Depth=2
	s_or_b64 exec, exec, s[74:75]
	s_and_b64 vcc, exec, vcc
	s_or_b64 s[66:67], vcc, s[66:67]
	s_andn2_b64 vcc, s[68:69], exec
	s_and_b64 s[68:69], s[70:71], exec
	s_or_b64 s[68:69], vcc, s[68:69]
	s_andn2_b64 exec, exec, s[66:67]
	s_cbranch_execz .LBB8_651
.LBB8_598:                              ;   Parent Loop BB8_79 Depth=1
                                        ; =>  This Inner Loop Header: Depth=2
	s_add_i32 s76, s76, 1
	s_cmpk_lg_i32 s76, 0x2710
	s_cselect_b64 s[72:73], -1, 0
	s_and_b64 vcc, exec, s[72:73]
                                        ; implicit-def: $sgpr74_sgpr75
	s_cbranch_vccnz .LBB8_600
; %bb.599:                              ;   in Loop: Header=BB8_598 Depth=2
	s_trap 2
	ds_read_b64 v[10:11], v0
	s_andn2_b64 s[72:73], s[72:73], exec
	s_mov_b32 s76, 0
	s_mov_b64 s[74:75], -1
	s_waitcnt vmcnt(0) lgkmcnt(0)
	flat_load_dword v2, v[10:11] sc0 sc1
	s_waitcnt vmcnt(0) lgkmcnt(0)
	buffer_inv sc0 sc1
	v_cmp_eq_u32_e32 vcc, 0, v2
	s_and_b64 vcc, vcc, exec
	s_or_b64 s[72:73], s[72:73], vcc
.LBB8_600:                              ;   in Loop: Header=BB8_598 Depth=2
	s_andn2_b64 s[70:71], s[70:71], exec
	s_and_b64 s[74:75], s[74:75], exec
	s_mov_b64 vcc, -1
	s_or_b64 s[70:71], s[70:71], s[74:75]
	s_and_saveexec_b64 s[74:75], s[72:73]
	s_cbranch_execz .LBB8_597
; %bb.601:                              ;   in Loop: Header=BB8_598 Depth=2
	s_sleep 1
	s_trap 2
	ds_read_b64 v[10:11], v0
	s_andn2_b64 s[70:71], s[70:71], exec
	s_waitcnt lgkmcnt(0)
	v_cmp_ge_u64_e32 vcc, v[10:11], v[28:29]
	s_orn2_b64 vcc, vcc, exec
	s_branch .LBB8_597
.LBB8_602:                              ;   in Loop: Header=BB8_79 Depth=1
	s_or_b64 exec, exec, s[66:67]
	s_and_saveexec_b64 vcc, s[68:69]
	s_xor_b64 vcc, exec, vcc
	s_cbranch_execz .LBB8_604
; %bb.603:                              ;   in Loop: Header=BB8_79 Depth=1
	ds_write_b32 v0, v60
	s_trap 2
.LBB8_604:                              ;   in Loop: Header=BB8_79 Depth=1
	s_or_b64 exec, exec, s[64:65]
	;;#ASMSTART
	s_wakeup
	;;#ASMEND
.LBB8_605:                              ;   in Loop: Header=BB8_79 Depth=1
	s_or_b64 exec, exec, s[62:63]
.LBB8_606:                              ;   in Loop: Header=BB8_79 Depth=1
	s_andn2_saveexec_b64 vcc, s[36:37]
	s_cbranch_execz .LBB8_608
; %bb.607:                              ;   in Loop: Header=BB8_79 Depth=1
	;;#ASMSTART
	s_waitcnt lgkmcnt(0) vmcnt(0)
	;;#ASMEND
	s_barrier
.LBB8_608:                              ;   in Loop: Header=BB8_79 Depth=1
	s_or_b64 exec, exec, vcc
	v_and_b32_e32 v2, 16, v62
.LBB8_609:                              ;   in Loop: Header=BB8_79 Depth=1
	s_or_b64 exec, exec, s[30:31]
	v_cmp_ne_u32_e32 vcc, 0, v2
	s_mov_b64 s[30:31], 0
	s_mov_b64 s[36:37], s[56:57]
	s_and_saveexec_b64 s[62:63], vcc
	s_xor_b64 vcc, exec, s[62:63]
; %bb.610:                              ;   in Loop: Header=BB8_79 Depth=1
	s_andn2_b64 s[30:31], s[56:57], exec
	s_and_b64 s[36:37], s[12:13], exec
	s_or_b64 s[36:37], s[30:31], s[36:37]
	s_and_b64 s[30:31], s[14:15], exec
; %bb.611:                              ;   in Loop: Header=BB8_79 Depth=1
	s_or_b64 exec, exec, vcc
	s_andn2_b64 vcc, s[56:57], exec
	s_and_b64 s[36:37], s[36:37], exec
	s_or_b64 s[36:37], vcc, s[36:37]
	s_and_b64 vcc, s[30:31], exec
.LBB8_612:                              ;   in Loop: Header=BB8_79 Depth=1
	s_or_b64 exec, exec, s[34:35]
	s_andn2_b64 s[30:31], s[56:57], exec
	s_and_b64 s[34:35], s[36:37], exec
	s_or_b64 s[30:31], s[30:31], s[34:35]
	s_and_b64 s[34:35], vcc, exec
                                        ; implicit-def: $vgpr58
                                        ; implicit-def: $vgpr31
                                        ; implicit-def: $vgpr10_vgpr11
.LBB8_613:                              ;   in Loop: Header=BB8_79 Depth=1
	s_andn2_saveexec_b64 s[36:37], s[60:61]
	s_cbranch_execz .LBB8_980
; %bb.614:                              ;   in Loop: Header=BB8_79 Depth=1
	v_mov_b32_e32 v2, 0
	s_and_saveexec_b64 s[60:61], s[28:29]
	s_cbranch_execz .LBB8_892
; %bb.615:                              ;   in Loop: Header=BB8_79 Depth=1
	s_and_saveexec_b64 s[28:29], s[0:1]
	s_cbranch_execz .LBB8_617
; %bb.616:                              ;   in Loop: Header=BB8_79 Depth=1
	s_trap 2
	ds_read_b64 v[12:13], v0
	v_mov_b32_e32 v2, v3
	s_waitcnt lgkmcnt(0)
	v_lshl_add_u64 v[10:11], v[12:13], 0, v[10:11]
	ds_write_b64 v0, v[10:11]
	ds_write_b64 v0, v[2:3]
.LBB8_617:                              ;   in Loop: Header=BB8_79 Depth=1
	s_or_b64 exec, exec, s[28:29]
	v_and_b32_e32 v2, 8, v62
	v_cmp_ne_u32_e32 vcc, 0, v2
	s_mov_b64 s[62:63], -1
	s_and_saveexec_b64 s[28:29], vcc
	s_cbranch_execz .LBB8_629
; %bb.618:                              ;   in Loop: Header=BB8_79 Depth=1
	v_lshl_add_u64 v[12:13], v[32:33], 0, 8
	v_lshl_add_u64 v[10:11], v[8:9], 0, 1
	v_cmp_lt_u64_e32 vcc, v[12:13], v[10:11]
	v_mov_b32_e32 v2, 1
	s_and_saveexec_b64 s[62:63], vcc
	s_cbranch_execz .LBB8_628
; %bb.619:                              ;   in Loop: Header=BB8_79 Depth=1
	s_mov_b64 s[64:65], 0
	v_mov_b32_e32 v2, 0
                                        ; implicit-def: $sgpr66_sgpr67
	s_branch .LBB8_623
.LBB8_620:                              ;   in Loop: Header=BB8_623 Depth=2
	s_or_b64 exec, exec, s[74:75]
	v_mov_b32_e32 v12, 0
	s_orn2_b64 s[72:73], s[72:73], exec
.LBB8_621:                              ;   in Loop: Header=BB8_623 Depth=2
	s_or_b64 exec, exec, s[70:71]
	s_andn2_b64 vcc, s[66:67], exec
	s_and_b64 s[66:67], s[72:73], exec
	s_or_b64 s[66:67], vcc, s[66:67]
	v_mov_b32_e32 v2, v12
.LBB8_622:                              ;   in Loop: Header=BB8_623 Depth=2
	s_or_b64 exec, exec, s[68:69]
	s_waitcnt vmcnt(0) lgkmcnt(0)
	v_lshl_add_u64 v[12:13], v[32:33], 0, 8
	v_cmp_ge_u64_e32 vcc, v[12:13], v[10:11]
	s_xor_b64 s[68:69], s[66:67], -1
	s_or_b64 vcc, s[68:69], vcc
	s_and_b64 vcc, exec, vcc
	s_or_b64 s[64:65], vcc, s[64:65]
	s_andn2_b64 exec, exec, s[64:65]
	s_cbranch_execz .LBB8_627
.LBB8_623:                              ;   Parent Loop BB8_79 Depth=1
                                        ; =>  This Inner Loop Header: Depth=2
	s_sleep 1
	flat_load_dwordx2 v[32:33], v[20:21] sc0 sc1
	v_and_b32_e32 v12, 64, v62
	v_cmp_eq_u32_e32 vcc, 0, v12
	s_andn2_b64 s[66:67], s[66:67], exec
	s_and_saveexec_b64 s[68:69], vcc
	s_cbranch_execz .LBB8_622
; %bb.624:                              ;   in Loop: Header=BB8_623 Depth=2
	v_add_u32_e32 v12, 1, v2
	v_cmp_lt_i32_e32 vcc, s81, v2
	s_mov_b64 s[72:73], -1
	s_and_saveexec_b64 s[70:71], vcc
	s_cbranch_execz .LBB8_621
; %bb.625:                              ;   in Loop: Header=BB8_623 Depth=2
	s_trap 2
	ds_read_b64 v[12:13], v0
	s_waitcnt vmcnt(0) lgkmcnt(0)
	flat_load_dword v2, v[12:13] sc0 sc1
	s_waitcnt vmcnt(0) lgkmcnt(0)
	buffer_inv sc0 sc1
	v_cmp_ne_u32_e32 vcc, 0, v2
	s_and_saveexec_b64 s[74:75], vcc
	s_cbranch_execz .LBB8_620
; %bb.626:                              ;   in Loop: Header=BB8_623 Depth=2
	v_or_b32_e32 v62, 64, v62
	s_xor_b64 s[72:73], exec, -1
	ds_write_b32 v0, v2
	s_trap 2
	s_branch .LBB8_620
.LBB8_627:                              ;   in Loop: Header=BB8_79 Depth=1
	s_or_b64 exec, exec, s[64:65]
	v_and_b32_e32 v2, 8, v62
.LBB8_628:                              ;   in Loop: Header=BB8_79 Depth=1
	s_or_b64 exec, exec, s[62:63]
	v_cmp_eq_u32_e32 vcc, 0, v2
	s_orn2_b64 s[62:63], vcc, exec
	;;#ASMSTART
	s_wakeup
	;;#ASMEND
.LBB8_629:                              ;   in Loop: Header=BB8_79 Depth=1
	s_or_b64 exec, exec, s[28:29]
	s_xor_b64 s[28:29], s[62:63], -1
	v_min_i32_e32 v58, v58, v31
	s_and_saveexec_b64 s[62:63], s[28:29]
	s_cbranch_execz .LBB8_639
; %bb.630:                              ;   in Loop: Header=BB8_79 Depth=1
	v_and_b32_e32 v2, 0x100, v62
	v_cmp_ne_u32_e32 vcc, 0, v2
	v_and_b32_e32 v2, 7, v8
	s_mov_b64 s[28:29], -1
                                        ; implicit-def: $vgpr10_vgpr11
	s_and_saveexec_b64 s[64:65], vcc
	s_cbranch_execz .LBB8_634
; %bb.631:                              ;   in Loop: Header=BB8_79 Depth=1
	v_mad_u64_u32 v[12:13], s[28:29], v2, 24, v[6:7]
	flat_load_dword v10, v[12:13]
	v_ashrrev_i32_e32 v59, 31, v58
	flat_store_dwordx2 v[12:13], v[58:59] offset:8
	s_waitcnt vmcnt(0) lgkmcnt(0)
	v_cmp_ne_u32_e32 vcc, 1, v10
	v_cmp_eq_u32_e64 s[28:29], 1, v10
                                        ; implicit-def: $vgpr10_vgpr11
	s_and_saveexec_b64 s[66:67], s[28:29]
	s_cbranch_execz .LBB8_633
; %bb.632:                              ;   in Loop: Header=BB8_79 Depth=1
	flat_load_dword v10, v[12:13] offset:4 sc0 sc1
	s_waitcnt vmcnt(0) lgkmcnt(0)
	v_ashrrev_i32_e32 v11, 31, v10
.LBB8_633:                              ;   in Loop: Header=BB8_79 Depth=1
	s_or_b64 exec, exec, s[66:67]
	s_orn2_b64 s[28:29], vcc, exec
.LBB8_634:                              ;   in Loop: Header=BB8_79 Depth=1
	s_or_b64 exec, exec, s[64:65]
	s_and_saveexec_b64 vcc, s[28:29]
; %bb.635:                              ;   in Loop: Header=BB8_79 Depth=1
	v_mad_i64_i32 v[10:11], s[28:29], v2, v54, 0
; %bb.636:                              ;   in Loop: Header=BB8_79 Depth=1
	s_or_b64 exec, exec, vcc
	v_and_b32_e32 v2, 0x2000, v62
	v_lshl_add_u64 v[10:11], v[40:41], 0, v[10:11]
	v_cmp_ne_u32_e32 vcc, 0, v2
	ds_write_b64 v0, v[10:11] offset:784
	s_and_saveexec_b64 s[28:29], vcc
	s_cbranch_execz .LBB8_638
; %bb.637:                              ;   in Loop: Header=BB8_79 Depth=1
	ds_read_b64 v[10:11], v0 offset:584
	s_waitcnt lgkmcnt(0)
	v_lshl_add_u64 v[10:11], v[10:11], 0, 1
	ds_write_b64 v0, v[10:11] offset:584
.LBB8_638:                              ;   in Loop: Header=BB8_79 Depth=1
	s_or_b64 exec, exec, s[28:29]
	v_lshl_add_u64 v[8:9], v[8:9], 0, 1
.LBB8_639:                              ;   in Loop: Header=BB8_79 Depth=1
	s_or_b64 exec, exec, s[62:63]
	s_and_saveexec_b64 s[28:29], s[10:11]
	s_cbranch_execz .LBB8_677
; %bb.640:                              ;   in Loop: Header=BB8_79 Depth=1
	s_and_saveexec_b64 vcc, s[46:47]
	s_xor_b64 s[62:63], exec, vcc
	s_cbranch_execz .LBB8_674
; %bb.641:                              ;   in Loop: Header=BB8_79 Depth=1
	s_and_saveexec_b64 s[64:65], s[16:17]
	s_cbranch_execz .LBB8_673
; %bb.642:                              ;   in Loop: Header=BB8_79 Depth=1
	s_mov_b64 s[68:69], exec
	v_mbcnt_lo_u32_b32 v2, s68, 0
	v_mbcnt_hi_u32_b32 v2, s69, v2
	v_cmp_eq_u32_e32 vcc, 0, v2
	s_waitcnt lgkmcnt(0)
	s_and_saveexec_b64 s[66:67], vcc
	s_cbranch_execz .LBB8_644
; %bb.643:                              ;   in Loop: Header=BB8_79 Depth=1
	s_bcnt1_i32_b64 vcc_lo, s[68:69]
	v_mov_b32_e32 v2, vcc_lo
	ds_add_u64 v0, v[2:3]
	s_trap 2
.LBB8_644:                              ;   in Loop: Header=BB8_79 Depth=1
	s_or_b64 exec, exec, s[66:67]
	s_trap 2
	ds_read_b64 v[10:11], v0
	v_lshl_add_u64 v[28:29], v[28:29], 0, v[34:35]
	s_waitcnt lgkmcnt(0)
	v_cmp_lt_u64_e32 vcc, v[10:11], v[28:29]
	s_and_saveexec_b64 s[66:67], vcc
	s_cbranch_execz .LBB8_672
; %bb.645:                              ;   in Loop: Header=BB8_79 Depth=1
	s_mov_b32 s78, 0
	s_mov_b64 s[68:69], 0
                                        ; implicit-def: $sgpr70_sgpr71
                                        ; implicit-def: $sgpr72_sgpr73
	s_branch .LBB8_647
.LBB8_646:                              ;   in Loop: Header=BB8_647 Depth=2
	s_or_b64 exec, exec, s[76:77]
	s_and_b64 vcc, exec, vcc
	s_or_b64 s[68:69], vcc, s[68:69]
	s_andn2_b64 vcc, s[70:71], exec
	s_and_b64 s[70:71], s[72:73], exec
	s_or_b64 s[70:71], vcc, s[70:71]
	s_andn2_b64 exec, exec, s[68:69]
	s_cbranch_execz .LBB8_670
.LBB8_647:                              ;   Parent Loop BB8_79 Depth=1
                                        ; =>  This Inner Loop Header: Depth=2
	s_add_i32 s78, s78, 1
	s_cmpk_lg_i32 s78, 0x2710
	s_cselect_b64 s[74:75], -1, 0
	s_and_b64 vcc, exec, s[74:75]
                                        ; implicit-def: $sgpr76_sgpr77
	s_cbranch_vccnz .LBB8_649
; %bb.648:                              ;   in Loop: Header=BB8_647 Depth=2
	s_trap 2
	ds_read_b64 v[10:11], v0
	s_andn2_b64 s[74:75], s[74:75], exec
	s_mov_b32 s78, 0
	s_mov_b64 s[76:77], -1
	s_waitcnt vmcnt(0) lgkmcnt(0)
	flat_load_dword v2, v[10:11] sc0 sc1
	s_waitcnt vmcnt(0) lgkmcnt(0)
	buffer_inv sc0 sc1
	v_cmp_eq_u32_e32 vcc, 0, v2
	s_and_b64 vcc, vcc, exec
	s_or_b64 s[74:75], s[74:75], vcc
.LBB8_649:                              ;   in Loop: Header=BB8_647 Depth=2
	s_andn2_b64 s[72:73], s[72:73], exec
	s_and_b64 s[76:77], s[76:77], exec
	s_mov_b64 vcc, -1
	s_or_b64 s[72:73], s[72:73], s[76:77]
	s_and_saveexec_b64 s[76:77], s[74:75]
	s_cbranch_execz .LBB8_646
; %bb.650:                              ;   in Loop: Header=BB8_647 Depth=2
	s_sleep 1
	s_trap 2
	ds_read_b64 v[10:11], v0
	s_andn2_b64 s[72:73], s[72:73], exec
	s_waitcnt lgkmcnt(0)
	v_cmp_ge_u64_e32 vcc, v[10:11], v[28:29]
	s_orn2_b64 vcc, vcc, exec
	s_branch .LBB8_646
.LBB8_651:                              ;   in Loop: Header=BB8_79 Depth=1
	s_or_b64 exec, exec, s[66:67]
	s_and_saveexec_b64 vcc, s[68:69]
	s_xor_b64 vcc, exec, vcc
	s_cbranch_execz .LBB8_653
; %bb.652:                              ;   in Loop: Header=BB8_79 Depth=1
	ds_write_b32 v0, v60
	s_trap 2
.LBB8_653:                              ;   in Loop: Header=BB8_79 Depth=1
	s_or_b64 exec, exec, s[64:65]
	;;#ASMSTART
	s_wakeup
	;;#ASMEND
.LBB8_654:                              ;   in Loop: Header=BB8_79 Depth=1
	s_or_b64 exec, exec, s[62:63]
.LBB8_655:                              ;   in Loop: Header=BB8_79 Depth=1
	s_andn2_saveexec_b64 vcc, s[60:61]
	s_cbranch_execz .LBB8_657
; %bb.656:                              ;   in Loop: Header=BB8_79 Depth=1
	s_waitcnt lgkmcnt(0)
	s_barrier
.LBB8_657:                              ;   in Loop: Header=BB8_79 Depth=1
	s_or_b64 exec, exec, vcc
.LBB8_658:                              ;   in Loop: Header=BB8_79 Depth=1
	s_or_b64 exec, exec, s[30:31]
	s_trap 2
	ds_read_b32 v10, v0
	v_and_b32_e32 v2, 0x4000, v62
	v_cmp_ne_u32_e32 vcc, 0, v2
	s_xor_b64 s[30:31], s[6:7], -1
	s_and_b64 vcc, s[30:31], vcc
	s_and_saveexec_b64 s[30:31], vcc
	s_cbranch_execz .LBB8_696
; %bb.659:                              ;   in Loop: Header=BB8_79 Depth=1
	s_and_saveexec_b64 vcc, s[46:47]
	s_xor_b64 s[60:61], exec, vcc
	s_cbranch_execz .LBB8_693
; %bb.660:                              ;   in Loop: Header=BB8_79 Depth=1
	s_and_saveexec_b64 s[62:63], s[16:17]
	s_cbranch_execz .LBB8_692
; %bb.661:                              ;   in Loop: Header=BB8_79 Depth=1
	s_mov_b64 s[66:67], exec
	v_mbcnt_lo_u32_b32 v2, s66, 0
	v_mbcnt_hi_u32_b32 v2, s67, v2
	v_cmp_eq_u32_e32 vcc, 0, v2
	s_waitcnt lgkmcnt(0)
	s_and_saveexec_b64 s[64:65], vcc
	s_cbranch_execz .LBB8_663
; %bb.662:                              ;   in Loop: Header=BB8_79 Depth=1
	s_bcnt1_i32_b64 vcc_lo, s[66:67]
	v_mov_b32_e32 v2, vcc_lo
	ds_add_u64 v0, v[2:3]
	s_trap 2
.LBB8_663:                              ;   in Loop: Header=BB8_79 Depth=1
	s_or_b64 exec, exec, s[64:65]
	s_trap 2
	ds_read_b64 v[12:13], v0
	v_lshl_add_u64 v[28:29], v[28:29], 0, v[34:35]
	s_waitcnt lgkmcnt(0)
	v_cmp_lt_u64_e32 vcc, v[12:13], v[28:29]
	s_and_saveexec_b64 s[64:65], vcc
	s_cbranch_execz .LBB8_691
; %bb.664:                              ;   in Loop: Header=BB8_79 Depth=1
	s_mov_b32 s76, 0
	s_mov_b64 s[66:67], 0
                                        ; implicit-def: $sgpr68_sgpr69
                                        ; implicit-def: $sgpr70_sgpr71
	s_branch .LBB8_666
.LBB8_665:                              ;   in Loop: Header=BB8_666 Depth=2
	s_or_b64 exec, exec, s[74:75]
	s_and_b64 vcc, exec, vcc
	s_or_b64 s[66:67], vcc, s[66:67]
	s_andn2_b64 vcc, s[68:69], exec
	s_and_b64 s[68:69], s[70:71], exec
	s_or_b64 s[68:69], vcc, s[68:69]
	s_andn2_b64 exec, exec, s[66:67]
	s_cbranch_execz .LBB8_689
.LBB8_666:                              ;   Parent Loop BB8_79 Depth=1
                                        ; =>  This Inner Loop Header: Depth=2
	s_add_i32 s76, s76, 1
	s_cmpk_lg_i32 s76, 0x2710
	s_cselect_b64 s[72:73], -1, 0
	s_and_b64 vcc, exec, s[72:73]
                                        ; implicit-def: $sgpr74_sgpr75
	s_cbranch_vccnz .LBB8_668
; %bb.667:                              ;   in Loop: Header=BB8_666 Depth=2
	s_trap 2
	ds_read_b64 v[12:13], v0
	s_andn2_b64 s[72:73], s[72:73], exec
	s_mov_b32 s76, 0
	s_mov_b64 s[74:75], -1
	s_waitcnt vmcnt(0) lgkmcnt(0)
	flat_load_dword v2, v[12:13] sc0 sc1
	s_waitcnt vmcnt(0) lgkmcnt(0)
	buffer_inv sc0 sc1
	v_cmp_eq_u32_e32 vcc, 0, v2
	s_and_b64 vcc, vcc, exec
	s_or_b64 s[72:73], s[72:73], vcc
.LBB8_668:                              ;   in Loop: Header=BB8_666 Depth=2
	s_andn2_b64 s[70:71], s[70:71], exec
	s_and_b64 s[74:75], s[74:75], exec
	s_mov_b64 vcc, -1
	s_or_b64 s[70:71], s[70:71], s[74:75]
	s_and_saveexec_b64 s[74:75], s[72:73]
	s_cbranch_execz .LBB8_665
; %bb.669:                              ;   in Loop: Header=BB8_666 Depth=2
	s_sleep 1
	s_trap 2
	ds_read_b64 v[12:13], v0
	s_andn2_b64 s[70:71], s[70:71], exec
	s_waitcnt lgkmcnt(0)
	v_cmp_ge_u64_e32 vcc, v[12:13], v[28:29]
	s_orn2_b64 vcc, vcc, exec
	s_branch .LBB8_665
.LBB8_670:                              ;   in Loop: Header=BB8_79 Depth=1
	s_or_b64 exec, exec, s[68:69]
	s_and_saveexec_b64 vcc, s[70:71]
	s_xor_b64 vcc, exec, vcc
	s_cbranch_execz .LBB8_672
; %bb.671:                              ;   in Loop: Header=BB8_79 Depth=1
	ds_write_b32 v0, v60
	s_trap 2
.LBB8_672:                              ;   in Loop: Header=BB8_79 Depth=1
	s_or_b64 exec, exec, s[66:67]
	;;#ASMSTART
	s_wakeup
	;;#ASMEND
.LBB8_673:                              ;   in Loop: Header=BB8_79 Depth=1
	s_or_b64 exec, exec, s[64:65]
.LBB8_674:                              ;   in Loop: Header=BB8_79 Depth=1
	s_andn2_saveexec_b64 vcc, s[62:63]
	s_cbranch_execz .LBB8_676
; %bb.675:                              ;   in Loop: Header=BB8_79 Depth=1
	s_waitcnt lgkmcnt(0)
	s_barrier
.LBB8_676:                              ;   in Loop: Header=BB8_79 Depth=1
	s_or_b64 exec, exec, vcc
.LBB8_677:                              ;   in Loop: Header=BB8_79 Depth=1
	s_or_b64 exec, exec, s[28:29]
	s_trap 2
	ds_read_b32 v10, v0
	v_and_b32_e32 v2, 0x4000, v62
	v_cmp_ne_u32_e32 vcc, 0, v2
	s_xor_b64 s[28:29], s[6:7], -1
	s_and_b64 vcc, s[28:29], vcc
	s_and_saveexec_b64 s[28:29], vcc
	s_cbranch_execz .LBB8_748
; %bb.678:                              ;   in Loop: Header=BB8_79 Depth=1
	s_and_saveexec_b64 vcc, s[46:47]
	s_xor_b64 s[62:63], exec, vcc
	s_cbranch_execz .LBB8_745
; %bb.679:                              ;   in Loop: Header=BB8_79 Depth=1
	s_and_saveexec_b64 s[64:65], s[16:17]
	s_cbranch_execz .LBB8_744
; %bb.680:                              ;   in Loop: Header=BB8_79 Depth=1
	s_mov_b64 s[68:69], exec
	v_mbcnt_lo_u32_b32 v2, s68, 0
	v_mbcnt_hi_u32_b32 v2, s69, v2
	v_cmp_eq_u32_e32 vcc, 0, v2
	s_waitcnt lgkmcnt(0)
	s_and_saveexec_b64 s[66:67], vcc
	s_cbranch_execz .LBB8_682
; %bb.681:                              ;   in Loop: Header=BB8_79 Depth=1
	s_bcnt1_i32_b64 vcc_lo, s[68:69]
	v_mov_b32_e32 v2, vcc_lo
	ds_add_u64 v0, v[2:3]
	s_trap 2
.LBB8_682:                              ;   in Loop: Header=BB8_79 Depth=1
	s_or_b64 exec, exec, s[66:67]
	s_trap 2
	ds_read_b64 v[12:13], v0
	v_lshl_add_u64 v[28:29], v[28:29], 0, v[34:35]
	s_waitcnt lgkmcnt(0)
	v_cmp_lt_u64_e32 vcc, v[12:13], v[28:29]
	s_and_saveexec_b64 s[66:67], vcc
	s_cbranch_execz .LBB8_743
; %bb.683:                              ;   in Loop: Header=BB8_79 Depth=1
	s_mov_b32 s78, 0
	s_mov_b64 s[68:69], 0
                                        ; implicit-def: $sgpr70_sgpr71
                                        ; implicit-def: $sgpr72_sgpr73
	s_branch .LBB8_685
.LBB8_684:                              ;   in Loop: Header=BB8_685 Depth=2
	s_or_b64 exec, exec, s[76:77]
	s_and_b64 vcc, exec, vcc
	s_or_b64 s[68:69], vcc, s[68:69]
	s_andn2_b64 vcc, s[70:71], exec
	s_and_b64 s[70:71], s[72:73], exec
	s_or_b64 s[70:71], vcc, s[70:71]
	s_andn2_b64 exec, exec, s[68:69]
	s_cbranch_execz .LBB8_741
.LBB8_685:                              ;   Parent Loop BB8_79 Depth=1
                                        ; =>  This Inner Loop Header: Depth=2
	s_add_i32 s78, s78, 1
	s_cmpk_lg_i32 s78, 0x2710
	s_cselect_b64 s[74:75], -1, 0
	s_and_b64 vcc, exec, s[74:75]
                                        ; implicit-def: $sgpr76_sgpr77
	s_cbranch_vccnz .LBB8_687
; %bb.686:                              ;   in Loop: Header=BB8_685 Depth=2
	s_trap 2
	ds_read_b64 v[12:13], v0
	s_andn2_b64 s[74:75], s[74:75], exec
	s_mov_b32 s78, 0
	s_mov_b64 s[76:77], -1
	s_waitcnt vmcnt(0) lgkmcnt(0)
	flat_load_dword v2, v[12:13] sc0 sc1
	s_waitcnt vmcnt(0) lgkmcnt(0)
	buffer_inv sc0 sc1
	v_cmp_eq_u32_e32 vcc, 0, v2
	s_and_b64 vcc, vcc, exec
	s_or_b64 s[74:75], s[74:75], vcc
.LBB8_687:                              ;   in Loop: Header=BB8_685 Depth=2
	s_andn2_b64 s[72:73], s[72:73], exec
	s_and_b64 s[76:77], s[76:77], exec
	s_mov_b64 vcc, -1
	s_or_b64 s[72:73], s[72:73], s[76:77]
	s_and_saveexec_b64 s[76:77], s[74:75]
	s_cbranch_execz .LBB8_684
; %bb.688:                              ;   in Loop: Header=BB8_685 Depth=2
	s_sleep 1
	s_trap 2
	ds_read_b64 v[12:13], v0
	s_andn2_b64 s[72:73], s[72:73], exec
	s_waitcnt lgkmcnt(0)
	v_cmp_ge_u64_e32 vcc, v[12:13], v[28:29]
	s_orn2_b64 vcc, vcc, exec
	s_branch .LBB8_684
.LBB8_689:                              ;   in Loop: Header=BB8_79 Depth=1
	s_or_b64 exec, exec, s[66:67]
	s_and_saveexec_b64 vcc, s[68:69]
	s_xor_b64 vcc, exec, vcc
	s_cbranch_execz .LBB8_691
; %bb.690:                              ;   in Loop: Header=BB8_79 Depth=1
	ds_write_b32 v0, v60
	s_trap 2
.LBB8_691:                              ;   in Loop: Header=BB8_79 Depth=1
	s_or_b64 exec, exec, s[64:65]
	;;#ASMSTART
	s_wakeup
	;;#ASMEND
.LBB8_692:                              ;   in Loop: Header=BB8_79 Depth=1
	s_or_b64 exec, exec, s[62:63]
.LBB8_693:                              ;   in Loop: Header=BB8_79 Depth=1
	s_andn2_saveexec_b64 vcc, s[60:61]
	s_cbranch_execz .LBB8_695
; %bb.694:                              ;   in Loop: Header=BB8_79 Depth=1
	s_waitcnt lgkmcnt(0)
	s_barrier
.LBB8_695:                              ;   in Loop: Header=BB8_79 Depth=1
	s_or_b64 exec, exec, vcc
.LBB8_696:                              ;   in Loop: Header=BB8_79 Depth=1
	s_or_b64 exec, exec, s[30:31]
	s_trap 2
	ds_read_b64 v[12:13], v0
	v_min_i32_e32 v58, v58, v31
	s_mov_b64 s[30:31], 0
	s_waitcnt lgkmcnt(0)
	v_readfirstlane_b32 vcc_lo, v12
	v_readfirstlane_b32 vcc_hi, v13
	s_cmp_eq_u64 vcc, 0
	s_cselect_b64 vcc, -1, 0
	s_or_b64 vcc, vcc, vcc
	s_and_b64 vcc, exec, vcc
	s_cbranch_vccnz .LBB8_729
; %bb.697:                              ;   in Loop: Header=BB8_79 Depth=1
	s_mov_b64 s[30:31], -1
	s_and_saveexec_b64 s[60:61], s[18:19]
	s_cbranch_execz .LBB8_699
; %bb.698:                              ;   in Loop: Header=BB8_79 Depth=1
	ds_read_b32 v2, v0 offset:720
	s_waitcnt lgkmcnt(0)
	v_and_b32_e32 v2, 15, v2
	v_cmp_eq_u32_e32 vcc, 0, v2
	s_orn2_b64 s[30:31], vcc, exec
.LBB8_699:                              ;   in Loop: Header=BB8_79 Depth=1
	s_or_b64 exec, exec, s[60:61]
	s_and_saveexec_b64 s[60:61], s[22:23]
	s_cbranch_execz .LBB8_701
; %bb.700:                              ;   in Loop: Header=BB8_79 Depth=1
	ds_read_b32 v2, v0 offset:784
	s_waitcnt lgkmcnt(0)
	v_and_b32_e32 v2, 15, v2
	v_cmp_eq_u32_e32 vcc, 0, v2
	s_and_b64 vcc, s[30:31], vcc
	s_andn2_b64 s[30:31], s[30:31], exec
	s_and_b64 vcc, vcc, exec
	s_or_b64 s[30:31], s[30:31], vcc
.LBB8_701:                              ;   in Loop: Header=BB8_79 Depth=1
	s_or_b64 exec, exec, s[60:61]
	v_cmp_eq_u32_e32 vcc, 0, v10
	v_mov_b32_e32 v22, 0
	s_mov_b64 s[62:63], -1
	v_cndmask_b32_e32 v2, 0, v58, vcc
	s_xor_b64 vcc, s[30:31], -1
	v_cndmask_b32_e64 v10, 0, 1, vcc
	;;#ASMSTART
	;;#ASMEND
	v_mov_b32_e32 v50, v2
	v_cmp_ne_u32_e32 vcc, 0, v10
	v_mov_b32_e32 v51, v61
	v_mov_b32_e32 v12, v23
	s_cbranch_vccnz .LBB8_715
; %bb.702:                              ;   in Loop: Header=BB8_79 Depth=1
	v_ashrrev_i32_e32 v10, 31, v2
	v_lshrrev_b32_e32 v10, 20, v10
	v_add_u32_e32 v10, v2, v10
	v_ashrrev_i32_e32 v16, 12, v10
	v_sub_u32_e32 v17, v16, v23
	v_cmp_lt_i32_e32 vcc, 0, v17
	s_and_saveexec_b64 s[30:31], vcc
	s_cbranch_execz .LBB8_706
; %bb.703:                              ;   in Loop: Header=BB8_79 Depth=1
	s_trap 2
	ds_read_b64 v[10:11], v0
	s_mov_b64 s[60:61], 0
	s_waitcnt lgkmcnt(0)
	v_mov_b64_e32 v[12:13], v[10:11]
.LBB8_704:                              ;   Parent Loop BB8_79 Depth=1
                                        ; =>  This Inner Loop Header: Depth=2
	v_lshl_add_u64 v[38:39], v[26:27], 0, v[12:13]
	global_load_dwordx4 v[24:27], v[38:39], off nt
	global_load_dwordx4 v[48:51], v[38:39], off offset:1024 nt
	global_load_dwordx4 v[52:55], v[38:39], off offset:2048 nt
	s_nop 0
	global_load_dwordx4 v[38:41], v[38:39], off offset:3072 nt
	v_sub_u32_e32 v17, v17, v34
	v_lshl_add_u64 v[46:47], v[0:1], 0, v[10:11]
	v_cmp_gt_i32_e32 vcc, 1, v17
	v_lshl_add_u64 v[12:13], v[12:13], 0, v[42:43]
	v_lshl_add_u64 v[10:11], v[10:11], 0, v[42:43]
	s_or_b64 s[60:61], vcc, s[60:61]
	s_waitcnt vmcnt(0)
	global_store_dwordx4 v[46:47], v[24:27], off nt
	s_nop 1
	v_mov_b64_e32 v[26:27], v[0:1]
	global_store_dwordx4 v[46:47], v[48:51], off offset:1024 nt
	global_store_dwordx4 v[46:47], v[52:55], off offset:2048 nt
	global_store_dwordx4 v[46:47], v[38:41], off offset:3072 nt
	s_andn2_b64 exec, exec, s[60:61]
	s_cbranch_execnz .LBB8_704
; %bb.705:                              ;   in Loop: Header=BB8_79 Depth=1
	s_or_b64 exec, exec, s[60:61]
	v_accvgpr_read_b32 v41, a11
	v_accvgpr_read_b32 v53, a13
	;; [unrolled: 1-line block ×8, first 2 shown]
.LBB8_706:                              ;   in Loop: Header=BB8_79 Depth=1
	s_or_b64 exec, exec, s[30:31]
	v_lshlrev_b32_e32 v16, 12, v16
	v_cmp_ne_u32_e32 vcc, v2, v16
	s_mov_b64 s[62:63], 0
	v_mov_b32_e32 v22, 0
                                        ; implicit-def: $vgpr50
                                        ; implicit-def: $vgpr51
                                        ; implicit-def: $vgpr12
	s_and_saveexec_b64 s[60:61], vcc
	s_cbranch_execz .LBB8_714
; %bb.707:                              ;   in Loop: Header=BB8_79 Depth=1
	v_lshlrev_b32_e32 v11, 6, v17
	v_accvgpr_read_b32 v12, a23
	v_sub_u32_e32 v11, v12, v11
	v_ashrrev_i32_e32 v12, 31, v11
	v_lshrrev_b32_e32 v12, 26, v12
	v_add_u32_e32 v12, v11, v12
	v_ashrrev_i32_e32 v13, 6, v12
	v_and_b32_e32 v12, 0xffffffc0, v12
	v_sub_u32_e32 v17, v11, v12
	v_sub_u32_e32 v10, v2, v16
	v_lshlrev_b32_e32 v11, 4, v17
	v_lshl_add_u32 v12, v13, 10, v11
	v_ashrrev_i32_e32 v11, 31, v10
	v_lshrrev_b32_e32 v11, 22, v11
	v_add_u32_e32 v11, v10, v11
	v_and_b32_e32 v48, 0xfffffc00, v11
	v_sub_u32_e32 v46, v10, v48
	v_ashrrev_i32_e32 v23, 10, v11
	v_cmp_lt_i32_e32 vcc, 15, v46
	v_sub_u32_e32 v22, v10, v12
	s_nop 0
	v_addc_co_u32_e64 v10, s[30:31], 0, v23, vcc
	v_sub_u32_e32 v49, v10, v13
	v_cmp_lt_i32_e64 s[30:31], 15, v22
	s_and_saveexec_b64 s[62:63], s[30:31]
	s_cbranch_execz .LBB8_711
; %bb.708:                              ;   in Loop: Header=BB8_79 Depth=1
	s_trap 2
	ds_read_b64 v[10:11], v0
	v_add_u32_e32 v12, v12, v16
	v_ashrrev_i32_e32 v13, 31, v12
	s_mov_b64 s[64:65], 0
.LBB8_709:                              ;   Parent Loop BB8_79 Depth=1
                                        ; =>  This Inner Loop Header: Depth=2
	s_waitcnt lgkmcnt(0)
	v_lshl_add_u64 v[38:39], v[10:11], 0, v[12:13]
	global_load_dwordx4 v[24:27], v[38:39], off nt
	v_sub_u32_e32 v22, v22, v55
	v_cmp_gt_i32_e64 s[30:31], 16, v22
	v_sub_u32_e32 v49, v49, v34
	v_lshl_add_u64 v[12:13], v[12:13], 0, v[44:45]
	s_or_b64 s[64:65], s[30:31], s[64:65]
	s_waitcnt vmcnt(0)
	global_store_dwordx4 v[38:39], v[24:27], off nt
	s_andn2_b64 exec, exec, s[64:65]
	s_cbranch_execnz .LBB8_709
; %bb.710:                              ;   in Loop: Header=BB8_79 Depth=1
	s_or_b64 exec, exec, s[64:65]
	v_accvgpr_read_b32 v39, a17
	v_accvgpr_read_b32 v38, a16
	v_mov_b64_e32 v[26:27], v[0:1]
.LBB8_711:                              ;   in Loop: Header=BB8_79 Depth=1
	s_or_b64 exec, exec, s[62:63]
	v_and_b32_e32 v10, 15, v2
	v_cndmask_b32_e32 v50, v46, v10, vcc
	s_mov_b64 s[62:63], 0
	v_mov_b32_e32 v22, 0
	v_cmp_ne_u32_e64 s[30:31], 0, v50
                                        ; implicit-def: $vgpr51
                                        ; implicit-def: $vgpr12
	s_mov_b64 s[64:65], exec
	s_and_b64 s[30:31], s[64:65], s[30:31]
	v_accvgpr_read_b32 v23, a22
	s_mov_b64 exec, s[30:31]
	s_cbranch_execz .LBB8_713
; %bb.712:                              ;   in Loop: Header=BB8_79 Depth=1
	v_sub_u32_e32 v10, v46, v10
	v_cndmask_b32_e32 v10, 0, v10, vcc
	v_cmp_lt_i32_e32 vcc, 0, v49
	v_add3_u32 v22, v48, v16, v10
	s_mov_b64 s[62:63], exec
	v_cndmask_b32_e32 v10, 0, v34, vcc
	v_sub_u32_e32 v10, v10, v49
	v_lshl_add_u32 v51, v10, 6, v17
	v_ashrrev_i32_e32 v10, 31, v51
	v_lshrrev_b32_e32 v10, 26, v10
	v_add_u32_e32 v10, v51, v10
	v_ashrrev_i32_e32 v12, 6, v10
.LBB8_713:                              ;   in Loop: Header=BB8_79 Depth=1
	s_or_b64 exec, exec, s[64:65]
	s_and_b64 s[62:63], s[62:63], exec
.LBB8_714:                              ;   in Loop: Header=BB8_79 Depth=1
	s_or_b64 exec, exec, s[60:61]
.LBB8_715:                              ;   in Loop: Header=BB8_79 Depth=1
	s_and_saveexec_b64 s[30:31], s[62:63]
	s_cbranch_execz .LBB8_724
; %bb.716:                              ;   in Loop: Header=BB8_79 Depth=1
	v_ashrrev_i32_e32 v10, 31, v50
	v_lshrrev_b32_e32 v10, 22, v10
	v_add_u32_e32 v10, v50, v10
	v_ashrrev_i32_e32 v46, 10, v10
	v_sub_u32_e32 v48, v46, v12
	v_ashrrev_i32_e32 v10, 31, v51
	v_cmp_lt_i32_e32 vcc, 0, v48
	v_lshrrev_b32_e32 v49, 26, v10
	s_and_saveexec_b64 s[60:61], vcc
	s_cbranch_execz .LBB8_720
; %bb.717:                              ;   in Loop: Header=BB8_79 Depth=1
	s_trap 2
	ds_read_b64 v[10:11], v0
	v_add_u32_e32 v13, v51, v49
	v_and_b32_e32 v13, 0xffffffc0, v13
	v_sub_u32_e32 v13, v51, v13
	v_lshlrev_b32_e32 v12, 10, v12
	v_add3_u32 v12, v22, v13, v12
	v_ashrrev_i32_e32 v13, 31, v12
	s_mov_b64 s[62:63], 0
	s_waitcnt lgkmcnt(0)
	v_mov_b64_e32 v[16:17], v[10:11]
.LBB8_718:                              ;   Parent Loop BB8_79 Depth=1
                                        ; =>  This Inner Loop Header: Depth=2
	v_lshl_add_u64 v[24:25], v[12:13], 0, v[16:17]
	flat_load_ubyte v23, v[24:25] nt
	flat_load_ubyte v26, v[24:25] offset:64 nt
	flat_load_ubyte v27, v[24:25] offset:128 nt
	;; [unrolled: 1-line block ×15, first 2 shown]
	v_sub_u32_e32 v48, v48, v34
	v_cmp_gt_i32_e32 vcc, 1, v48
	v_lshl_add_u64 v[24:25], v[12:13], 0, v[10:11]
	v_lshl_add_u64 v[16:17], v[16:17], 0, v[44:45]
	;; [unrolled: 1-line block ×3, first 2 shown]
	s_or_b64 s[62:63], vcc, s[62:63]
	s_waitcnt vmcnt(0) lgkmcnt(0)
	flat_store_byte v[24:25], v23 nt
	flat_store_byte v[24:25], v26 offset:64 nt
	flat_store_byte v[24:25], v27 offset:128 nt
	;; [unrolled: 1-line block ×15, first 2 shown]
	s_andn2_b64 exec, exec, s[62:63]
	s_cbranch_execnz .LBB8_718
; %bb.719:                              ;   in Loop: Header=BB8_79 Depth=1
	s_or_b64 exec, exec, s[62:63]
	v_accvgpr_read_b32 v41, a11
	v_accvgpr_read_b32 v53, a13
	;; [unrolled: 1-line block ×8, first 2 shown]
	v_mov_b32_e32 v60, 1
	v_accvgpr_read_b32 v55, a15
	v_accvgpr_read_b32 v38, a16
	;; [unrolled: 1-line block ×3, first 2 shown]
	v_mov_b64_e32 v[26:27], v[0:1]
.LBB8_720:                              ;   in Loop: Header=BB8_79 Depth=1
	s_or_b64 exec, exec, s[60:61]
	v_lshlrev_b32_e32 v10, 10, v46
	v_cmp_ne_u32_e32 vcc, v50, v10
	v_accvgpr_read_b32 v47, a27
	s_and_b64 vcc, exec, vcc
	v_accvgpr_read_b32 v46, a26
	s_mov_b64 exec, vcc
	s_cbranch_execz .LBB8_724
; %bb.721:                              ;   in Loop: Header=BB8_79 Depth=1
	v_add_u32_e32 v11, v51, v49
	v_and_b32_e32 v11, 0xffffffc0, v11
	v_sub_u32_e32 v11, v51, v11
	v_lshlrev_b32_e32 v12, 6, v48
	v_sub_u32_e32 v11, v11, v12
	v_add_u32_e32 v12, v10, v11
	v_sub_u32_e32 v16, v50, v12
	v_cmp_lt_i32_e32 vcc, 0, v16
	s_and_b64 exec, exec, vcc
	s_cbranch_execz .LBB8_724
; %bb.722:                              ;   in Loop: Header=BB8_79 Depth=1
	s_trap 2
	ds_read_b64 v[10:11], v0
	v_add_u32_e32 v12, v12, v22
	v_ashrrev_i32_e32 v13, 31, v12
	s_mov_b64 s[60:61], 0
.LBB8_723:                              ;   Parent Loop BB8_79 Depth=1
                                        ; =>  This Inner Loop Header: Depth=2
	s_waitcnt lgkmcnt(0)
	v_lshl_add_u64 v[24:25], v[10:11], 0, v[12:13]
	flat_load_ubyte v17, v[24:25] nt
	v_sub_u32_e32 v16, v16, v30
	v_cmp_gt_i32_e32 vcc, 1, v16
	v_lshl_add_u64 v[12:13], v[12:13], 0, v[46:47]
	s_or_b64 s[60:61], vcc, s[60:61]
	s_waitcnt vmcnt(0) lgkmcnt(0)
	flat_store_byte v[24:25], v17 nt
	s_andn2_b64 exec, exec, s[60:61]
	s_cbranch_execnz .LBB8_723
.LBB8_724:                              ;   in Loop: Header=BB8_79 Depth=1
	s_or_b64 exec, exec, s[30:31]
	v_accvgpr_read_b32 v49, a21
	v_accvgpr_read_b32 v24, a26
	v_cmp_lt_i32_e64 s[30:31], 0, v2
	v_accvgpr_read_b32 v48, a20
	v_accvgpr_read_b32 v25, a27
	s_and_saveexec_b64 s[60:61], s[10:11]
	s_cbranch_execnz .LBB8_730
.LBB8_725:                              ;   in Loop: Header=BB8_79 Depth=1
	s_or_b64 exec, exec, s[60:61]
	s_and_saveexec_b64 vcc, s[24:25]
	s_xor_b64 s[60:61], exec, vcc
	s_cbranch_execz .LBB8_801
.LBB8_726:                              ;   in Loop: Header=BB8_79 Depth=1
	v_and_b32_e32 v2, 16, v62
	v_cmp_ne_u32_e32 vcc, 0, v2
	s_and_b64 s[30:31], vcc, s[30:31]
	s_and_saveexec_b64 vcc, s[30:31]
	s_cbranch_execz .LBB8_728
; %bb.727:                              ;   in Loop: Header=BB8_79 Depth=1
	buffer_wbl2 sc1
	s_waitcnt vmcnt(0) lgkmcnt(0)
	buffer_inv sc1
.LBB8_728:                              ;   in Loop: Header=BB8_79 Depth=1
	s_or_b64 exec, exec, vcc
	s_andn2_saveexec_b64 s[30:31], s[60:61]
	s_cbranch_execz .LBB8_839
	s_branch .LBB8_802
.LBB8_729:                              ;   in Loop: Header=BB8_79 Depth=1
	s_and_saveexec_b64 s[60:61], s[10:11]
	s_cbranch_execz .LBB8_725
.LBB8_730:                              ;   in Loop: Header=BB8_79 Depth=1
	s_and_saveexec_b64 vcc, s[46:47]
	s_xor_b64 s[62:63], exec, vcc
	s_cbranch_execz .LBB8_798
; %bb.731:                              ;   in Loop: Header=BB8_79 Depth=1
	s_and_saveexec_b64 s[64:65], s[16:17]
	s_cbranch_execz .LBB8_797
; %bb.732:                              ;   in Loop: Header=BB8_79 Depth=1
	s_mov_b64 s[68:69], exec
	v_mbcnt_lo_u32_b32 v2, s68, 0
	v_mbcnt_hi_u32_b32 v2, s69, v2
	v_cmp_eq_u32_e32 vcc, 0, v2
	s_waitcnt lgkmcnt(0)
	s_and_saveexec_b64 s[66:67], vcc
	s_cbranch_execz .LBB8_734
; %bb.733:                              ;   in Loop: Header=BB8_79 Depth=1
	s_bcnt1_i32_b64 vcc_lo, s[68:69]
	v_mov_b32_e32 v2, vcc_lo
	ds_add_u64 v0, v[2:3]
	s_trap 2
.LBB8_734:                              ;   in Loop: Header=BB8_79 Depth=1
	s_or_b64 exec, exec, s[66:67]
	s_trap 2
	ds_read_b64 v[10:11], v0
	v_lshl_add_u64 v[28:29], v[28:29], 0, v[34:35]
	s_waitcnt lgkmcnt(0)
	v_cmp_lt_u64_e32 vcc, v[10:11], v[28:29]
	s_and_saveexec_b64 s[66:67], vcc
	s_cbranch_execz .LBB8_796
; %bb.735:                              ;   in Loop: Header=BB8_79 Depth=1
	s_mov_b32 s78, 0
	s_mov_b64 s[68:69], 0
                                        ; implicit-def: $sgpr70_sgpr71
                                        ; implicit-def: $sgpr72_sgpr73
	s_branch .LBB8_737
.LBB8_736:                              ;   in Loop: Header=BB8_737 Depth=2
	s_or_b64 exec, exec, s[76:77]
	s_and_b64 vcc, exec, vcc
	s_or_b64 s[68:69], vcc, s[68:69]
	s_andn2_b64 vcc, s[70:71], exec
	s_and_b64 s[70:71], s[72:73], exec
	s_or_b64 s[70:71], vcc, s[70:71]
	s_andn2_b64 exec, exec, s[68:69]
	s_cbranch_execz .LBB8_794
.LBB8_737:                              ;   Parent Loop BB8_79 Depth=1
                                        ; =>  This Inner Loop Header: Depth=2
	s_add_i32 s78, s78, 1
	s_cmpk_lg_i32 s78, 0x2710
	s_cselect_b64 s[74:75], -1, 0
	s_and_b64 vcc, exec, s[74:75]
                                        ; implicit-def: $sgpr76_sgpr77
	s_cbranch_vccnz .LBB8_739
; %bb.738:                              ;   in Loop: Header=BB8_737 Depth=2
	s_trap 2
	ds_read_b64 v[10:11], v0
	s_andn2_b64 s[74:75], s[74:75], exec
	s_mov_b32 s78, 0
	s_mov_b64 s[76:77], -1
	s_waitcnt vmcnt(0) lgkmcnt(0)
	flat_load_dword v2, v[10:11] sc0 sc1
	s_waitcnt vmcnt(0) lgkmcnt(0)
	buffer_inv sc0 sc1
	v_cmp_eq_u32_e32 vcc, 0, v2
	s_and_b64 vcc, vcc, exec
	s_or_b64 s[74:75], s[74:75], vcc
.LBB8_739:                              ;   in Loop: Header=BB8_737 Depth=2
	s_andn2_b64 s[72:73], s[72:73], exec
	s_and_b64 s[76:77], s[76:77], exec
	s_mov_b64 vcc, -1
	s_or_b64 s[72:73], s[72:73], s[76:77]
	s_and_saveexec_b64 s[76:77], s[74:75]
	s_cbranch_execz .LBB8_736
; %bb.740:                              ;   in Loop: Header=BB8_737 Depth=2
	s_sleep 1
	s_trap 2
	ds_read_b64 v[10:11], v0
	s_andn2_b64 s[72:73], s[72:73], exec
	s_waitcnt lgkmcnt(0)
	v_cmp_ge_u64_e32 vcc, v[10:11], v[28:29]
	s_orn2_b64 vcc, vcc, exec
	s_branch .LBB8_736
.LBB8_741:                              ;   in Loop: Header=BB8_79 Depth=1
	s_or_b64 exec, exec, s[68:69]
	s_and_saveexec_b64 vcc, s[70:71]
	s_xor_b64 vcc, exec, vcc
	s_cbranch_execz .LBB8_743
; %bb.742:                              ;   in Loop: Header=BB8_79 Depth=1
	ds_write_b32 v0, v60
	s_trap 2
.LBB8_743:                              ;   in Loop: Header=BB8_79 Depth=1
	s_or_b64 exec, exec, s[66:67]
	;;#ASMSTART
	s_wakeup
	;;#ASMEND
.LBB8_744:                              ;   in Loop: Header=BB8_79 Depth=1
	s_or_b64 exec, exec, s[64:65]
.LBB8_745:                              ;   in Loop: Header=BB8_79 Depth=1
	s_andn2_saveexec_b64 vcc, s[62:63]
	s_cbranch_execz .LBB8_747
; %bb.746:                              ;   in Loop: Header=BB8_79 Depth=1
	s_waitcnt lgkmcnt(0)
	s_barrier
.LBB8_747:                              ;   in Loop: Header=BB8_79 Depth=1
	s_or_b64 exec, exec, vcc
.LBB8_748:                              ;   in Loop: Header=BB8_79 Depth=1
	s_or_b64 exec, exec, s[28:29]
	s_trap 2
	ds_read_b64 v[12:13], v0
	s_waitcnt lgkmcnt(0)
	v_readfirstlane_b32 s28, v12
	v_readfirstlane_b32 s29, v13
	s_cmp_eq_u64 s[28:29], 0
	s_cselect_b64 s[28:29], -1, 0
	s_or_b64 vcc, s[28:29], s[28:29]
	s_mov_b64 s[28:29], 0
	s_and_b64 vcc, exec, vcc
	s_cbranch_vccnz .LBB8_782
; %bb.749:                              ;   in Loop: Header=BB8_79 Depth=1
	s_mov_b64 s[28:29], -1
	s_and_saveexec_b64 s[62:63], s[22:23]
	s_cbranch_execz .LBB8_751
; %bb.750:                              ;   in Loop: Header=BB8_79 Depth=1
	ds_read_b32 v2, v0 offset:720
	s_waitcnt lgkmcnt(0)
	v_and_b32_e32 v2, 15, v2
	v_cmp_eq_u32_e32 vcc, 0, v2
	s_orn2_b64 s[28:29], vcc, exec
.LBB8_751:                              ;   in Loop: Header=BB8_79 Depth=1
	s_or_b64 exec, exec, s[62:63]
	s_and_saveexec_b64 s[62:63], s[18:19]
	s_cbranch_execz .LBB8_753
; %bb.752:                              ;   in Loop: Header=BB8_79 Depth=1
	ds_read_b32 v2, v0 offset:784
	s_waitcnt lgkmcnt(0)
	v_and_b32_e32 v2, 15, v2
	v_cmp_eq_u32_e32 vcc, 0, v2
	s_and_b64 vcc, s[28:29], vcc
	s_andn2_b64 s[28:29], s[28:29], exec
	s_and_b64 vcc, vcc, exec
	s_or_b64 s[28:29], s[28:29], vcc
.LBB8_753:                              ;   in Loop: Header=BB8_79 Depth=1
	s_or_b64 exec, exec, s[62:63]
	v_cmp_eq_u32_e32 vcc, 0, v10
	s_xor_b64 s[28:29], s[28:29], -1
	v_cndmask_b32_e64 v10, 0, 1, s[28:29]
	v_cndmask_b32_e32 v2, 0, v58, vcc
	v_mov_b32_e32 v22, 0
	s_mov_b64 s[64:65], -1
	;;#ASMSTART
	;;#ASMEND
	v_mov_b32_e32 v50, v2
	v_cmp_ne_u32_e32 vcc, 0, v10
	v_mov_b32_e32 v51, v61
	v_mov_b32_e32 v12, v23
	s_cbranch_vccnz .LBB8_767
; %bb.754:                              ;   in Loop: Header=BB8_79 Depth=1
	v_ashrrev_i32_e32 v10, 31, v2
	v_lshrrev_b32_e32 v10, 20, v10
	v_add_u32_e32 v10, v2, v10
	v_ashrrev_i32_e32 v16, 12, v10
	v_sub_u32_e32 v17, v16, v23
	v_cmp_lt_i32_e32 vcc, 0, v17
	s_and_saveexec_b64 s[28:29], vcc
	s_cbranch_execz .LBB8_758
; %bb.755:                              ;   in Loop: Header=BB8_79 Depth=1
	s_trap 2
	ds_read_b64 v[10:11], v0
	s_mov_b64 s[62:63], 0
	s_waitcnt lgkmcnt(0)
	v_mov_b64_e32 v[12:13], v[10:11]
.LBB8_756:                              ;   Parent Loop BB8_79 Depth=1
                                        ; =>  This Inner Loop Header: Depth=2
	v_lshl_add_u64 v[52:53], v[26:27], 0, v[12:13]
	global_load_dwordx4 v[48:51], v[52:53], off nt
	global_load_dwordx4 v[24:27], v[52:53], off offset:1024 nt
	global_load_dwordx4 v[38:41], v[52:53], off offset:2048 nt
	s_nop 0
	global_load_dwordx4 v[52:55], v[52:53], off offset:3072 nt
	v_sub_u32_e32 v17, v17, v34
	v_lshl_add_u64 v[46:47], v[0:1], 0, v[10:11]
	v_cmp_gt_i32_e32 vcc, 1, v17
	v_lshl_add_u64 v[12:13], v[12:13], 0, v[42:43]
	v_lshl_add_u64 v[10:11], v[10:11], 0, v[42:43]
	s_or_b64 s[62:63], vcc, s[62:63]
	s_waitcnt vmcnt(0)
	global_store_dwordx4 v[46:47], v[48:51], off nt
	global_store_dwordx4 v[46:47], v[24:27], off offset:1024 nt
	s_nop 1
	v_mov_b64_e32 v[26:27], v[0:1]
	global_store_dwordx4 v[46:47], v[38:41], off offset:2048 nt
	global_store_dwordx4 v[46:47], v[52:55], off offset:3072 nt
	s_andn2_b64 exec, exec, s[62:63]
	s_cbranch_execnz .LBB8_756
; %bb.757:                              ;   in Loop: Header=BB8_79 Depth=1
	s_or_b64 exec, exec, s[62:63]
	v_accvgpr_read_b32 v41, a11
	v_accvgpr_read_b32 v53, a13
	;; [unrolled: 1-line block ×8, first 2 shown]
.LBB8_758:                              ;   in Loop: Header=BB8_79 Depth=1
	s_or_b64 exec, exec, s[28:29]
	v_lshlrev_b32_e32 v16, 12, v16
	v_cmp_ne_u32_e32 vcc, v2, v16
	s_mov_b64 s[64:65], 0
	v_mov_b32_e32 v22, 0
                                        ; implicit-def: $vgpr50
                                        ; implicit-def: $vgpr51
                                        ; implicit-def: $vgpr12
	s_and_saveexec_b64 s[62:63], vcc
	s_cbranch_execz .LBB8_766
; %bb.759:                              ;   in Loop: Header=BB8_79 Depth=1
	v_lshlrev_b32_e32 v11, 6, v17
	v_accvgpr_read_b32 v12, a23
	v_sub_u32_e32 v11, v12, v11
	v_ashrrev_i32_e32 v12, 31, v11
	v_lshrrev_b32_e32 v12, 26, v12
	v_add_u32_e32 v12, v11, v12
	v_ashrrev_i32_e32 v13, 6, v12
	v_and_b32_e32 v12, 0xffffffc0, v12
	v_sub_u32_e32 v17, v11, v12
	v_sub_u32_e32 v10, v2, v16
	v_lshlrev_b32_e32 v11, 4, v17
	v_lshl_add_u32 v12, v13, 10, v11
	v_ashrrev_i32_e32 v11, 31, v10
	v_lshrrev_b32_e32 v11, 22, v11
	v_add_u32_e32 v11, v10, v11
	v_and_b32_e32 v48, 0xfffffc00, v11
	v_sub_u32_e32 v46, v10, v48
	v_ashrrev_i32_e32 v24, 10, v11
	v_cmp_lt_i32_e32 vcc, 15, v46
	v_sub_u32_e32 v22, v10, v12
	s_nop 0
	v_addc_co_u32_e64 v10, s[28:29], 0, v24, vcc
	v_sub_u32_e32 v49, v10, v13
	v_cmp_lt_i32_e64 s[28:29], 15, v22
	s_and_saveexec_b64 s[64:65], s[28:29]
	s_cbranch_execz .LBB8_763
; %bb.760:                              ;   in Loop: Header=BB8_79 Depth=1
	s_trap 2
	ds_read_b64 v[10:11], v0
	v_add_u32_e32 v12, v12, v16
	v_ashrrev_i32_e32 v13, 31, v12
	s_mov_b64 s[66:67], 0
.LBB8_761:                              ;   Parent Loop BB8_79 Depth=1
                                        ; =>  This Inner Loop Header: Depth=2
	s_waitcnt lgkmcnt(0)
	v_lshl_add_u64 v[38:39], v[10:11], 0, v[12:13]
	global_load_dwordx4 v[24:27], v[38:39], off nt
	v_sub_u32_e32 v22, v22, v55
	v_cmp_gt_i32_e64 s[28:29], 16, v22
	v_sub_u32_e32 v49, v49, v34
	v_lshl_add_u64 v[12:13], v[12:13], 0, v[44:45]
	s_or_b64 s[66:67], s[28:29], s[66:67]
	s_waitcnt vmcnt(0)
	global_store_dwordx4 v[38:39], v[24:27], off nt
	s_andn2_b64 exec, exec, s[66:67]
	s_cbranch_execnz .LBB8_761
; %bb.762:                              ;   in Loop: Header=BB8_79 Depth=1
	s_or_b64 exec, exec, s[66:67]
	v_accvgpr_read_b32 v39, a17
	v_accvgpr_read_b32 v38, a16
	v_mov_b64_e32 v[26:27], v[0:1]
.LBB8_763:                              ;   in Loop: Header=BB8_79 Depth=1
	s_or_b64 exec, exec, s[64:65]
	v_and_b32_e32 v10, 15, v2
	v_cndmask_b32_e32 v50, v46, v10, vcc
	v_cmp_ne_u32_e64 s[28:29], 0, v50
	s_mov_b64 s[64:65], 0
	v_mov_b32_e32 v22, 0
                                        ; implicit-def: $vgpr51
                                        ; implicit-def: $vgpr12
	s_and_saveexec_b64 s[66:67], s[28:29]
	s_cbranch_execz .LBB8_765
; %bb.764:                              ;   in Loop: Header=BB8_79 Depth=1
	v_sub_u32_e32 v10, v46, v10
	v_cndmask_b32_e32 v10, 0, v10, vcc
	v_cmp_lt_i32_e32 vcc, 0, v49
	v_add3_u32 v22, v48, v16, v10
	s_mov_b64 s[64:65], exec
	v_cndmask_b32_e32 v10, 0, v34, vcc
	v_sub_u32_e32 v10, v10, v49
	v_lshl_add_u32 v51, v10, 6, v17
	v_ashrrev_i32_e32 v10, 31, v51
	v_lshrrev_b32_e32 v10, 26, v10
	v_add_u32_e32 v10, v51, v10
	v_ashrrev_i32_e32 v12, 6, v10
.LBB8_765:                              ;   in Loop: Header=BB8_79 Depth=1
	s_or_b64 exec, exec, s[66:67]
	s_and_b64 s[64:65], s[64:65], exec
.LBB8_766:                              ;   in Loop: Header=BB8_79 Depth=1
	s_or_b64 exec, exec, s[62:63]
.LBB8_767:                              ;   in Loop: Header=BB8_79 Depth=1
	s_and_saveexec_b64 s[28:29], s[64:65]
	s_cbranch_execz .LBB8_776
; %bb.768:                              ;   in Loop: Header=BB8_79 Depth=1
	v_ashrrev_i32_e32 v10, 31, v50
	v_lshrrev_b32_e32 v10, 22, v10
	v_add_u32_e32 v10, v50, v10
	v_ashrrev_i32_e32 v46, 10, v10
	v_sub_u32_e32 v48, v46, v12
	v_ashrrev_i32_e32 v10, 31, v51
	v_cmp_lt_i32_e32 vcc, 0, v48
	v_lshrrev_b32_e32 v49, 26, v10
	s_and_saveexec_b64 s[62:63], vcc
	s_cbranch_execz .LBB8_772
; %bb.769:                              ;   in Loop: Header=BB8_79 Depth=1
	s_trap 2
	ds_read_b64 v[10:11], v0
	v_add_u32_e32 v13, v51, v49
	v_and_b32_e32 v13, 0xffffffc0, v13
	v_sub_u32_e32 v13, v51, v13
	v_lshlrev_b32_e32 v12, 10, v12
	v_add3_u32 v12, v22, v13, v12
	v_ashrrev_i32_e32 v13, 31, v12
	s_mov_b64 s[64:65], 0
	s_waitcnt lgkmcnt(0)
	v_mov_b64_e32 v[16:17], v[10:11]
.LBB8_770:                              ;   Parent Loop BB8_79 Depth=1
                                        ; =>  This Inner Loop Header: Depth=2
	v_lshl_add_u64 v[24:25], v[12:13], 0, v[16:17]
	flat_load_ubyte v26, v[24:25] nt
	flat_load_ubyte v27, v[24:25] offset:64 nt
	flat_load_ubyte v38, v[24:25] offset:128 nt
	;; [unrolled: 1-line block ×15, first 2 shown]
	v_sub_u32_e32 v48, v48, v34
	v_cmp_gt_i32_e32 vcc, 1, v48
	v_lshl_add_u64 v[24:25], v[12:13], 0, v[10:11]
	v_lshl_add_u64 v[16:17], v[16:17], 0, v[44:45]
	;; [unrolled: 1-line block ×3, first 2 shown]
	s_or_b64 s[64:65], vcc, s[64:65]
	s_waitcnt vmcnt(0) lgkmcnt(0)
	flat_store_byte v[24:25], v26 nt
	flat_store_byte v[24:25], v27 offset:64 nt
	flat_store_byte v[24:25], v38 offset:128 nt
	;; [unrolled: 1-line block ×15, first 2 shown]
	s_andn2_b64 exec, exec, s[64:65]
	s_cbranch_execnz .LBB8_770
; %bb.771:                              ;   in Loop: Header=BB8_79 Depth=1
	s_or_b64 exec, exec, s[64:65]
	v_accvgpr_read_b32 v41, a11
	v_accvgpr_read_b32 v53, a13
	;; [unrolled: 1-line block ×8, first 2 shown]
	v_mov_b32_e32 v60, 1
	v_accvgpr_read_b32 v55, a15
	v_accvgpr_read_b32 v38, a16
	;; [unrolled: 1-line block ×3, first 2 shown]
	v_mov_b64_e32 v[26:27], v[0:1]
.LBB8_772:                              ;   in Loop: Header=BB8_79 Depth=1
	s_or_b64 exec, exec, s[62:63]
	v_lshlrev_b32_e32 v10, 10, v46
	v_cmp_ne_u32_e32 vcc, v50, v10
	v_accvgpr_read_b32 v47, a27
	s_and_b64 vcc, exec, vcc
	v_accvgpr_read_b32 v46, a26
	s_mov_b64 exec, vcc
	s_cbranch_execz .LBB8_776
; %bb.773:                              ;   in Loop: Header=BB8_79 Depth=1
	v_add_u32_e32 v11, v51, v49
	v_and_b32_e32 v11, 0xffffffc0, v11
	v_sub_u32_e32 v11, v51, v11
	v_lshlrev_b32_e32 v12, 6, v48
	v_sub_u32_e32 v11, v11, v12
	v_add_u32_e32 v12, v10, v11
	v_sub_u32_e32 v16, v50, v12
	v_cmp_lt_i32_e32 vcc, 0, v16
	s_and_b64 exec, exec, vcc
	s_cbranch_execz .LBB8_776
; %bb.774:                              ;   in Loop: Header=BB8_79 Depth=1
	s_trap 2
	ds_read_b64 v[10:11], v0
	v_add_u32_e32 v12, v12, v22
	v_ashrrev_i32_e32 v13, 31, v12
	s_mov_b64 s[62:63], 0
.LBB8_775:                              ;   Parent Loop BB8_79 Depth=1
                                        ; =>  This Inner Loop Header: Depth=2
	s_waitcnt lgkmcnt(0)
	v_lshl_add_u64 v[24:25], v[10:11], 0, v[12:13]
	flat_load_ubyte v17, v[24:25] nt
	v_sub_u32_e32 v16, v16, v30
	v_cmp_gt_i32_e32 vcc, 1, v16
	v_lshl_add_u64 v[12:13], v[12:13], 0, v[46:47]
	s_or_b64 s[62:63], vcc, s[62:63]
	s_waitcnt vmcnt(0) lgkmcnt(0)
	flat_store_byte v[24:25], v17 nt
	s_andn2_b64 exec, exec, s[62:63]
	s_cbranch_execnz .LBB8_775
.LBB8_776:                              ;   in Loop: Header=BB8_79 Depth=1
	s_or_b64 exec, exec, s[28:29]
	v_accvgpr_read_b32 v49, a21
	v_accvgpr_read_b32 v24, a26
	v_cmp_lt_i32_e64 s[28:29], 0, v2
	v_accvgpr_read_b32 v48, a20
	v_accvgpr_read_b32 v25, a27
	s_and_saveexec_b64 s[62:63], s[10:11]
	s_cbranch_execnz .LBB8_783
.LBB8_777:                              ;   in Loop: Header=BB8_79 Depth=1
	s_or_b64 exec, exec, s[62:63]
                                        ; implicit-def: $vgpr2
	s_and_saveexec_b64 vcc, s[24:25]
	s_xor_b64 s[62:63], exec, vcc
	s_cbranch_execz .LBB8_820
.LBB8_778:                              ;   in Loop: Header=BB8_79 Depth=1
	v_and_b32_e32 v10, 16, v62
	v_cmp_ne_u32_e32 vcc, 0, v10
	v_and_b32_e32 v2, 16, v62
	s_and_b64 vcc, vcc, s[28:29]
	s_and_saveexec_b64 s[28:29], vcc
	s_cbranch_execz .LBB8_780
; %bb.779:                              ;   in Loop: Header=BB8_79 Depth=1
	v_mov_b32_e32 v2, 1
	buffer_wbl2 sc1
	s_waitcnt vmcnt(0) lgkmcnt(0)
	buffer_inv sc1
.LBB8_780:                              ;   in Loop: Header=BB8_79 Depth=1
	s_or_b64 exec, exec, s[28:29]
	s_andn2_saveexec_b64 s[28:29], s[62:63]
	s_cbranch_execnz .LBB8_821
.LBB8_781:                              ;   in Loop: Header=BB8_79 Depth=1
	s_or_b64 exec, exec, s[28:29]
	v_cmp_ne_u32_e32 vcc, 0, v2
	s_and_saveexec_b64 s[28:29], vcc
	s_cbranch_execnz .LBB8_888
	s_branch .LBB8_891
.LBB8_782:                              ;   in Loop: Header=BB8_79 Depth=1
	s_and_saveexec_b64 s[62:63], s[10:11]
	s_cbranch_execz .LBB8_777
.LBB8_783:                              ;   in Loop: Header=BB8_79 Depth=1
	s_and_saveexec_b64 vcc, s[46:47]
	s_xor_b64 s[64:65], exec, vcc
	s_cbranch_execz .LBB8_817
; %bb.784:                              ;   in Loop: Header=BB8_79 Depth=1
	s_and_saveexec_b64 s[66:67], s[16:17]
	s_cbranch_execz .LBB8_816
; %bb.785:                              ;   in Loop: Header=BB8_79 Depth=1
	s_mov_b64 s[70:71], exec
	v_mbcnt_lo_u32_b32 v2, s70, 0
	v_mbcnt_hi_u32_b32 v2, s71, v2
	v_cmp_eq_u32_e32 vcc, 0, v2
	s_waitcnt lgkmcnt(0)
	s_and_saveexec_b64 s[68:69], vcc
	s_cbranch_execz .LBB8_787
; %bb.786:                              ;   in Loop: Header=BB8_79 Depth=1
	s_bcnt1_i32_b64 vcc_lo, s[70:71]
	v_mov_b32_e32 v2, vcc_lo
	ds_add_u64 v0, v[2:3]
	s_trap 2
.LBB8_787:                              ;   in Loop: Header=BB8_79 Depth=1
	s_or_b64 exec, exec, s[68:69]
	s_trap 2
	ds_read_b64 v[10:11], v0
	v_lshl_add_u64 v[28:29], v[28:29], 0, v[34:35]
	s_waitcnt lgkmcnt(0)
	v_cmp_lt_u64_e32 vcc, v[10:11], v[28:29]
	s_and_saveexec_b64 s[68:69], vcc
	s_cbranch_execz .LBB8_815
; %bb.788:                              ;   in Loop: Header=BB8_79 Depth=1
	s_mov_b32 s84, 0
	s_mov_b64 s[70:71], 0
                                        ; implicit-def: $sgpr72_sgpr73
                                        ; implicit-def: $sgpr74_sgpr75
	s_branch .LBB8_790
.LBB8_789:                              ;   in Loop: Header=BB8_790 Depth=2
	s_or_b64 exec, exec, s[78:79]
	s_and_b64 vcc, exec, vcc
	s_or_b64 s[70:71], vcc, s[70:71]
	s_andn2_b64 vcc, s[72:73], exec
	s_and_b64 s[72:73], s[74:75], exec
	s_or_b64 s[72:73], vcc, s[72:73]
	s_andn2_b64 exec, exec, s[70:71]
	s_cbranch_execz .LBB8_813
.LBB8_790:                              ;   Parent Loop BB8_79 Depth=1
                                        ; =>  This Inner Loop Header: Depth=2
	s_add_i32 s84, s84, 1
	s_cmpk_lg_i32 s84, 0x2710
	s_cselect_b64 s[76:77], -1, 0
	s_and_b64 vcc, exec, s[76:77]
                                        ; implicit-def: $sgpr78_sgpr79
	s_cbranch_vccnz .LBB8_792
; %bb.791:                              ;   in Loop: Header=BB8_790 Depth=2
	s_trap 2
	ds_read_b64 v[10:11], v0
	s_andn2_b64 s[76:77], s[76:77], exec
	s_mov_b32 s84, 0
	s_mov_b64 s[78:79], -1
	s_waitcnt vmcnt(0) lgkmcnt(0)
	flat_load_dword v2, v[10:11] sc0 sc1
	s_waitcnt vmcnt(0) lgkmcnt(0)
	buffer_inv sc0 sc1
	v_cmp_eq_u32_e32 vcc, 0, v2
	s_and_b64 vcc, vcc, exec
	s_or_b64 s[76:77], s[76:77], vcc
.LBB8_792:                              ;   in Loop: Header=BB8_790 Depth=2
	s_andn2_b64 s[74:75], s[74:75], exec
	s_and_b64 s[78:79], s[78:79], exec
	s_mov_b64 vcc, -1
	s_or_b64 s[74:75], s[74:75], s[78:79]
	s_and_saveexec_b64 s[78:79], s[76:77]
	s_cbranch_execz .LBB8_789
; %bb.793:                              ;   in Loop: Header=BB8_790 Depth=2
	s_sleep 1
	s_trap 2
	ds_read_b64 v[10:11], v0
	s_andn2_b64 s[74:75], s[74:75], exec
	s_waitcnt lgkmcnt(0)
	v_cmp_ge_u64_e32 vcc, v[10:11], v[28:29]
	s_orn2_b64 vcc, vcc, exec
	s_branch .LBB8_789
.LBB8_794:                              ;   in Loop: Header=BB8_79 Depth=1
	s_or_b64 exec, exec, s[68:69]
	s_and_saveexec_b64 vcc, s[70:71]
	s_xor_b64 vcc, exec, vcc
	s_cbranch_execz .LBB8_796
; %bb.795:                              ;   in Loop: Header=BB8_79 Depth=1
	ds_write_b32 v0, v60
	s_trap 2
.LBB8_796:                              ;   in Loop: Header=BB8_79 Depth=1
	s_or_b64 exec, exec, s[66:67]
	;;#ASMSTART
	s_wakeup
	;;#ASMEND
.LBB8_797:                              ;   in Loop: Header=BB8_79 Depth=1
	s_or_b64 exec, exec, s[64:65]
.LBB8_798:                              ;   in Loop: Header=BB8_79 Depth=1
	s_andn2_saveexec_b64 vcc, s[62:63]
	s_cbranch_execz .LBB8_800
; %bb.799:                              ;   in Loop: Header=BB8_79 Depth=1
	s_waitcnt lgkmcnt(0)
	s_barrier
.LBB8_800:                              ;   in Loop: Header=BB8_79 Depth=1
	s_or_b64 exec, exec, vcc
	s_or_b64 exec, exec, s[60:61]
	s_and_saveexec_b64 vcc, s[24:25]
	s_xor_b64 s[60:61], exec, vcc
	s_cbranch_execnz .LBB8_726
.LBB8_801:                              ;   in Loop: Header=BB8_79 Depth=1
	s_andn2_saveexec_b64 s[30:31], s[60:61]
	s_cbranch_execz .LBB8_839
.LBB8_802:                              ;   in Loop: Header=BB8_79 Depth=1
	s_and_saveexec_b64 vcc, s[46:47]
	s_xor_b64 s[60:61], exec, vcc
	s_cbranch_execz .LBB8_836
; %bb.803:                              ;   in Loop: Header=BB8_79 Depth=1
	s_and_saveexec_b64 s[62:63], s[16:17]
	s_cbranch_execz .LBB8_835
; %bb.804:                              ;   in Loop: Header=BB8_79 Depth=1
	s_mov_b64 s[66:67], exec
	v_mbcnt_lo_u32_b32 v2, s66, 0
	v_mbcnt_hi_u32_b32 v2, s67, v2
	v_cmp_eq_u32_e32 vcc, 0, v2
	;;#ASMSTART
	s_waitcnt lgkmcnt(0) vmcnt(0)
	;;#ASMEND
	s_and_saveexec_b64 s[64:65], vcc
	s_cbranch_execz .LBB8_806
; %bb.805:                              ;   in Loop: Header=BB8_79 Depth=1
	s_bcnt1_i32_b64 vcc_lo, s[66:67]
	v_mov_b32_e32 v2, vcc_lo
	ds_add_u64 v0, v[2:3]
	s_trap 2
.LBB8_806:                              ;   in Loop: Header=BB8_79 Depth=1
	s_or_b64 exec, exec, s[64:65]
	s_trap 2
	ds_read_b64 v[10:11], v0
	v_lshl_add_u64 v[28:29], v[28:29], 0, v[34:35]
	s_waitcnt lgkmcnt(0)
	v_cmp_lt_u64_e32 vcc, v[10:11], v[28:29]
	s_and_saveexec_b64 s[64:65], vcc
	s_cbranch_execz .LBB8_834
; %bb.807:                              ;   in Loop: Header=BB8_79 Depth=1
	s_mov_b32 s76, 0
	s_mov_b64 s[66:67], 0
                                        ; implicit-def: $sgpr68_sgpr69
                                        ; implicit-def: $sgpr70_sgpr71
	s_branch .LBB8_809
.LBB8_808:                              ;   in Loop: Header=BB8_809 Depth=2
	s_or_b64 exec, exec, s[74:75]
	s_and_b64 vcc, exec, vcc
	s_or_b64 s[66:67], vcc, s[66:67]
	s_andn2_b64 vcc, s[68:69], exec
	s_and_b64 s[68:69], s[70:71], exec
	s_or_b64 s[68:69], vcc, s[68:69]
	s_andn2_b64 exec, exec, s[66:67]
	s_cbranch_execz .LBB8_832
.LBB8_809:                              ;   Parent Loop BB8_79 Depth=1
                                        ; =>  This Inner Loop Header: Depth=2
	s_add_i32 s76, s76, 1
	s_cmpk_lg_i32 s76, 0x2710
	s_cselect_b64 s[72:73], -1, 0
	s_and_b64 vcc, exec, s[72:73]
                                        ; implicit-def: $sgpr74_sgpr75
	s_cbranch_vccnz .LBB8_811
; %bb.810:                              ;   in Loop: Header=BB8_809 Depth=2
	s_trap 2
	ds_read_b64 v[10:11], v0
	s_andn2_b64 s[72:73], s[72:73], exec
	s_mov_b32 s76, 0
	s_mov_b64 s[74:75], -1
	s_waitcnt vmcnt(0) lgkmcnt(0)
	flat_load_dword v2, v[10:11] sc0 sc1
	s_waitcnt vmcnt(0) lgkmcnt(0)
	buffer_inv sc0 sc1
	v_cmp_eq_u32_e32 vcc, 0, v2
	s_and_b64 vcc, vcc, exec
	s_or_b64 s[72:73], s[72:73], vcc
.LBB8_811:                              ;   in Loop: Header=BB8_809 Depth=2
	s_andn2_b64 s[70:71], s[70:71], exec
	s_and_b64 s[74:75], s[74:75], exec
	s_mov_b64 vcc, -1
	s_or_b64 s[70:71], s[70:71], s[74:75]
	s_and_saveexec_b64 s[74:75], s[72:73]
	s_cbranch_execz .LBB8_808
; %bb.812:                              ;   in Loop: Header=BB8_809 Depth=2
	s_sleep 1
	s_trap 2
	ds_read_b64 v[10:11], v0
	s_andn2_b64 s[70:71], s[70:71], exec
	s_waitcnt lgkmcnt(0)
	v_cmp_ge_u64_e32 vcc, v[10:11], v[28:29]
	s_orn2_b64 vcc, vcc, exec
	s_branch .LBB8_808
.LBB8_813:                              ;   in Loop: Header=BB8_79 Depth=1
	s_or_b64 exec, exec, s[70:71]
	s_and_saveexec_b64 vcc, s[72:73]
	s_xor_b64 vcc, exec, vcc
	s_cbranch_execz .LBB8_815
; %bb.814:                              ;   in Loop: Header=BB8_79 Depth=1
	ds_write_b32 v0, v60
	s_trap 2
.LBB8_815:                              ;   in Loop: Header=BB8_79 Depth=1
	s_or_b64 exec, exec, s[68:69]
	;;#ASMSTART
	s_wakeup
	;;#ASMEND
.LBB8_816:                              ;   in Loop: Header=BB8_79 Depth=1
	s_or_b64 exec, exec, s[66:67]
.LBB8_817:                              ;   in Loop: Header=BB8_79 Depth=1
	s_andn2_saveexec_b64 vcc, s[64:65]
	s_cbranch_execz .LBB8_819
; %bb.818:                              ;   in Loop: Header=BB8_79 Depth=1
	s_waitcnt lgkmcnt(0)
	s_barrier
.LBB8_819:                              ;   in Loop: Header=BB8_79 Depth=1
	s_or_b64 exec, exec, vcc
	s_or_b64 exec, exec, s[62:63]
                                        ; implicit-def: $vgpr2
	s_and_saveexec_b64 vcc, s[24:25]
	s_xor_b64 s[62:63], exec, vcc
	s_cbranch_execnz .LBB8_778
.LBB8_820:                              ;   in Loop: Header=BB8_79 Depth=1
	s_andn2_saveexec_b64 s[28:29], s[62:63]
	s_cbranch_execz .LBB8_781
.LBB8_821:                              ;   in Loop: Header=BB8_79 Depth=1
	s_and_saveexec_b64 vcc, s[46:47]
	s_xor_b64 s[62:63], exec, vcc
	s_cbranch_execz .LBB8_885
; %bb.822:                              ;   in Loop: Header=BB8_79 Depth=1
	s_and_saveexec_b64 s[64:65], s[16:17]
	s_cbranch_execz .LBB8_884
; %bb.823:                              ;   in Loop: Header=BB8_79 Depth=1
	s_mov_b64 s[68:69], exec
	v_mbcnt_lo_u32_b32 v2, s68, 0
	v_mbcnt_hi_u32_b32 v2, s69, v2
	v_cmp_eq_u32_e32 vcc, 0, v2
	;;#ASMSTART
	s_waitcnt lgkmcnt(0) vmcnt(0)
	;;#ASMEND
	s_and_saveexec_b64 s[66:67], vcc
	s_cbranch_execz .LBB8_825
; %bb.824:                              ;   in Loop: Header=BB8_79 Depth=1
	s_bcnt1_i32_b64 vcc_lo, s[68:69]
	v_mov_b32_e32 v2, vcc_lo
	ds_add_u64 v0, v[2:3]
	s_trap 2
.LBB8_825:                              ;   in Loop: Header=BB8_79 Depth=1
	s_or_b64 exec, exec, s[66:67]
	s_trap 2
	ds_read_b64 v[10:11], v0
	v_lshl_add_u64 v[28:29], v[28:29], 0, v[34:35]
	s_waitcnt lgkmcnt(0)
	v_cmp_lt_u64_e32 vcc, v[10:11], v[28:29]
	s_and_saveexec_b64 s[66:67], vcc
	s_cbranch_execz .LBB8_883
; %bb.826:                              ;   in Loop: Header=BB8_79 Depth=1
	s_mov_b32 s78, 0
	s_mov_b64 s[68:69], 0
                                        ; implicit-def: $sgpr70_sgpr71
                                        ; implicit-def: $sgpr72_sgpr73
	s_branch .LBB8_828
.LBB8_827:                              ;   in Loop: Header=BB8_828 Depth=2
	s_or_b64 exec, exec, s[76:77]
	s_and_b64 vcc, exec, vcc
	s_or_b64 s[68:69], vcc, s[68:69]
	s_andn2_b64 vcc, s[70:71], exec
	s_and_b64 s[70:71], s[72:73], exec
	s_or_b64 s[70:71], vcc, s[70:71]
	s_andn2_b64 exec, exec, s[68:69]
	s_cbranch_execz .LBB8_881
.LBB8_828:                              ;   Parent Loop BB8_79 Depth=1
                                        ; =>  This Inner Loop Header: Depth=2
	s_add_i32 s78, s78, 1
	s_cmpk_lg_i32 s78, 0x2710
	s_cselect_b64 s[74:75], -1, 0
	s_and_b64 vcc, exec, s[74:75]
                                        ; implicit-def: $sgpr76_sgpr77
	s_cbranch_vccnz .LBB8_830
; %bb.829:                              ;   in Loop: Header=BB8_828 Depth=2
	s_trap 2
	ds_read_b64 v[10:11], v0
	s_andn2_b64 s[74:75], s[74:75], exec
	s_mov_b32 s78, 0
	s_mov_b64 s[76:77], -1
	s_waitcnt vmcnt(0) lgkmcnt(0)
	flat_load_dword v2, v[10:11] sc0 sc1
	s_waitcnt vmcnt(0) lgkmcnt(0)
	buffer_inv sc0 sc1
	v_cmp_eq_u32_e32 vcc, 0, v2
	s_and_b64 vcc, vcc, exec
	s_or_b64 s[74:75], s[74:75], vcc
.LBB8_830:                              ;   in Loop: Header=BB8_828 Depth=2
	s_andn2_b64 s[72:73], s[72:73], exec
	s_and_b64 s[76:77], s[76:77], exec
	s_mov_b64 vcc, -1
	s_or_b64 s[72:73], s[72:73], s[76:77]
	s_and_saveexec_b64 s[76:77], s[74:75]
	s_cbranch_execz .LBB8_827
; %bb.831:                              ;   in Loop: Header=BB8_828 Depth=2
	s_sleep 1
	s_trap 2
	ds_read_b64 v[10:11], v0
	s_andn2_b64 s[72:73], s[72:73], exec
	s_waitcnt lgkmcnt(0)
	v_cmp_ge_u64_e32 vcc, v[10:11], v[28:29]
	s_orn2_b64 vcc, vcc, exec
	s_branch .LBB8_827
.LBB8_832:                              ;   in Loop: Header=BB8_79 Depth=1
	s_or_b64 exec, exec, s[66:67]
	s_and_saveexec_b64 vcc, s[68:69]
	s_xor_b64 vcc, exec, vcc
	s_cbranch_execz .LBB8_834
; %bb.833:                              ;   in Loop: Header=BB8_79 Depth=1
	ds_write_b32 v0, v60
	s_trap 2
.LBB8_834:                              ;   in Loop: Header=BB8_79 Depth=1
	s_or_b64 exec, exec, s[64:65]
	;;#ASMSTART
	s_wakeup
	;;#ASMEND
.LBB8_835:                              ;   in Loop: Header=BB8_79 Depth=1
	s_or_b64 exec, exec, s[62:63]
.LBB8_836:                              ;   in Loop: Header=BB8_79 Depth=1
	s_andn2_saveexec_b64 vcc, s[60:61]
	s_cbranch_execz .LBB8_838
; %bb.837:                              ;   in Loop: Header=BB8_79 Depth=1
	;;#ASMSTART
	s_waitcnt lgkmcnt(0) vmcnt(0)
	;;#ASMEND
	s_barrier
.LBB8_838:                              ;   in Loop: Header=BB8_79 Depth=1
	s_or_b64 exec, exec, vcc
.LBB8_839:                              ;   in Loop: Header=BB8_79 Depth=1
	s_or_b64 exec, exec, s[30:31]
	v_and_b32_e32 v2, 32, v62
	v_cmp_ne_u32_e32 vcc, 0, v2
	s_and_saveexec_b64 s[30:31], vcc
	s_cbranch_execz .LBB8_841
; %bb.840:                              ;   in Loop: Header=BB8_79 Depth=1
	v_lshl_add_u64 v[8:9], v[8:9], 0, 1
	flat_store_dwordx2 v[20:21], v[8:9] sc0 sc1
.LBB8_841:                              ;   in Loop: Header=BB8_79 Depth=1
	s_or_b64 exec, exec, s[30:31]
	v_mov_b32_e32 v16, v58
.LBB8_842:                              ;   in Loop: Header=BB8_79 Depth=1
	s_or_b64 exec, exec, s[56:57]
	s_mov_b64 vcc, s[34:35]
	s_and_saveexec_b64 s[56:57], s[26:27]
	s_cbranch_execz .LBB8_991
; %bb.843:                              ;   in Loop: Header=BB8_79 Depth=1
	v_and_b32_e32 v2, 4, v62
	v_cmp_ne_u32_e32 vcc, 0, v2
	s_mov_b64 s[60:61], -1
	s_and_saveexec_b64 s[30:31], vcc
	s_cbranch_execz .LBB8_853
; %bb.844:                              ;   in Loop: Header=BB8_79 Depth=1
	v_lshl_add_u64 v[10:11], v[8:9], 0, 1
	v_cmp_lt_u64_e32 vcc, v[32:33], v[10:11]
	v_mov_b32_e32 v2, 1
	s_and_saveexec_b64 s[60:61], vcc
	s_cbranch_execz .LBB8_868
; %bb.845:                              ;   in Loop: Header=BB8_79 Depth=1
	s_mov_b64 s[62:63], 0
	v_mov_b32_e32 v2, 0
                                        ; implicit-def: $sgpr64_sgpr65
	s_branch .LBB8_849
.LBB8_846:                              ;   in Loop: Header=BB8_849 Depth=2
	s_or_b64 exec, exec, s[72:73]
	v_mov_b32_e32 v12, 0
	s_orn2_b64 s[70:71], s[70:71], exec
.LBB8_847:                              ;   in Loop: Header=BB8_849 Depth=2
	s_or_b64 exec, exec, s[68:69]
	s_andn2_b64 vcc, s[64:65], exec
	s_and_b64 s[64:65], s[70:71], exec
	s_or_b64 s[64:65], vcc, s[64:65]
	v_mov_b32_e32 v2, v12
.LBB8_848:                              ;   in Loop: Header=BB8_849 Depth=2
	s_or_b64 exec, exec, s[66:67]
	s_waitcnt vmcnt(0) lgkmcnt(0)
	v_cmp_ge_u64_e32 vcc, v[32:33], v[10:11]
	s_xor_b64 s[66:67], s[64:65], -1
	s_or_b64 vcc, s[66:67], vcc
	s_and_b64 vcc, exec, vcc
	s_or_b64 s[62:63], vcc, s[62:63]
	s_andn2_b64 exec, exec, s[62:63]
	s_cbranch_execz .LBB8_867
.LBB8_849:                              ;   Parent Loop BB8_79 Depth=1
                                        ; =>  This Inner Loop Header: Depth=2
	s_sleep 1
	flat_load_dwordx2 v[32:33], v[20:21] sc0 sc1
	v_and_b32_e32 v12, 64, v62
	v_cmp_eq_u32_e32 vcc, 0, v12
	s_andn2_b64 s[64:65], s[64:65], exec
	s_and_saveexec_b64 s[66:67], vcc
	s_cbranch_execz .LBB8_848
; %bb.850:                              ;   in Loop: Header=BB8_849 Depth=2
	v_add_u32_e32 v12, 1, v2
	v_cmp_lt_i32_e32 vcc, s81, v2
	s_mov_b64 s[70:71], -1
	s_and_saveexec_b64 s[68:69], vcc
	s_cbranch_execz .LBB8_847
; %bb.851:                              ;   in Loop: Header=BB8_849 Depth=2
	s_trap 2
	ds_read_b64 v[12:13], v0
	s_waitcnt vmcnt(0) lgkmcnt(0)
	flat_load_dword v2, v[12:13] sc0 sc1
	s_waitcnt vmcnt(0) lgkmcnt(0)
	buffer_inv sc0 sc1
	v_cmp_ne_u32_e32 vcc, 0, v2
	s_and_saveexec_b64 s[72:73], vcc
	s_cbranch_execz .LBB8_846
; %bb.852:                              ;   in Loop: Header=BB8_849 Depth=2
	v_or_b32_e32 v62, 64, v62
	s_xor_b64 s[70:71], exec, -1
	ds_write_b32 v0, v2
	s_trap 2
	s_branch .LBB8_846
.LBB8_853:                              ;   in Loop: Header=BB8_79 Depth=1
	s_or_b64 exec, exec, s[30:31]
	s_xor_b64 vcc, s[60:61], -1
	s_and_saveexec_b64 s[60:61], vcc
	s_cbranch_execz .LBB8_869
.LBB8_854:                              ;   in Loop: Header=BB8_79 Depth=1
	v_and_b32_e32 v2, 0x100, v62
	v_cmp_ne_u32_e32 vcc, 0, v2
	v_and_b32_e32 v2, 7, v8
	s_mov_b64 s[30:31], -1
                                        ; implicit-def: $vgpr10_vgpr11
	s_and_saveexec_b64 s[62:63], vcc
	s_cbranch_execz .LBB8_858
; %bb.855:                              ;   in Loop: Header=BB8_79 Depth=1
	v_mad_u64_u32 v[12:13], vcc, v2, 24, v[6:7]
	flat_load_dword v10, v[12:13]
	s_waitcnt vmcnt(0) lgkmcnt(0)
	v_cmp_ne_u32_e32 vcc, 1, v10
	v_cmp_eq_u32_e64 s[30:31], 1, v10
                                        ; implicit-def: $vgpr10_vgpr11
	s_and_saveexec_b64 s[64:65], s[30:31]
	s_cbranch_execz .LBB8_857
; %bb.856:                              ;   in Loop: Header=BB8_79 Depth=1
	flat_load_dword v10, v[12:13] offset:4 sc0 sc1
	s_waitcnt vmcnt(0) lgkmcnt(0)
	v_ashrrev_i32_e32 v11, 31, v10
.LBB8_857:                              ;   in Loop: Header=BB8_79 Depth=1
	s_or_b64 exec, exec, s[64:65]
	s_orn2_b64 s[30:31], vcc, exec
.LBB8_858:                              ;   in Loop: Header=BB8_79 Depth=1
	s_or_b64 exec, exec, s[62:63]
	s_and_saveexec_b64 vcc, s[30:31]
; %bb.859:                              ;   in Loop: Header=BB8_79 Depth=1
	v_mad_i64_i32 v[10:11], s[30:31], v2, v54, 0
; %bb.860:                              ;   in Loop: Header=BB8_79 Depth=1
	s_or_b64 exec, exec, vcc
	v_and_b32_e32 v2, 0x2000, v62
	v_lshl_add_u64 v[10:11], v[40:41], 0, v[10:11]
	v_cmp_ne_u32_e32 vcc, 0, v2
	ds_write_b64 v0, v[10:11] offset:720
	s_and_saveexec_b64 s[30:31], vcc
	s_cbranch_execz .LBB8_862
; %bb.861:                              ;   in Loop: Header=BB8_79 Depth=1
	ds_read_b64 v[10:11], v0 offset:584
	s_waitcnt lgkmcnt(0)
	v_lshl_add_u64 v[10:11], v[10:11], 0, 1
	ds_write_b64 v0, v[10:11] offset:584
.LBB8_862:                              ;   in Loop: Header=BB8_79 Depth=1
	s_or_b64 exec, exec, s[30:31]
	v_lshl_add_u64 v[8:9], v[8:9], 0, 1
	s_or_b64 exec, exec, s[60:61]
	s_and_saveexec_b64 s[30:31], s[10:11]
	s_cbranch_execnz .LBB8_870
.LBB8_863:                              ;   in Loop: Header=BB8_79 Depth=1
	s_or_b64 exec, exec, s[30:31]
	s_and_saveexec_b64 vcc, s[24:25]
	s_xor_b64 s[30:31], exec, vcc
	s_cbranch_execz .LBB8_946
.LBB8_864:                              ;   in Loop: Header=BB8_79 Depth=1
	s_trap 2
	ds_read_b32 v2, v0
	v_sub_u32_e32 v10, v31, v16
	v_min_i32_e32 v10, v58, v10
	v_cmp_lt_i32_e32 vcc, 0, v10
	s_waitcnt lgkmcnt(0)
	v_readfirstlane_b32 s60, v2
	s_cmp_eq_u32 s60, 0
	s_cselect_b64 s[60:61], -1, 0
	v_and_b32_e32 v2, 16, v62
	s_and_b64 s[60:61], vcc, s[60:61]
	v_cmp_ne_u32_e32 vcc, 0, v2
	s_and_b64 s[60:61], vcc, s[60:61]
	s_and_saveexec_b64 vcc, s[60:61]
	s_cbranch_execz .LBB8_866
; %bb.865:                              ;   in Loop: Header=BB8_79 Depth=1
	buffer_wbl2 sc1
	s_waitcnt vmcnt(0)
	buffer_inv sc1
.LBB8_866:                              ;   in Loop: Header=BB8_79 Depth=1
	s_or_b64 exec, exec, vcc
	s_andn2_saveexec_b64 s[30:31], s[30:31]
	s_cbranch_execz .LBB8_990
	s_branch .LBB8_947
.LBB8_867:                              ;   in Loop: Header=BB8_79 Depth=1
	s_or_b64 exec, exec, s[62:63]
	v_and_b32_e32 v2, 4, v62
.LBB8_868:                              ;   in Loop: Header=BB8_79 Depth=1
	s_or_b64 exec, exec, s[60:61]
	v_cmp_eq_u32_e32 vcc, 0, v2
	s_orn2_b64 s[60:61], vcc, exec
	;;#ASMSTART
	s_wakeup
	;;#ASMEND
	s_or_b64 exec, exec, s[30:31]
	s_xor_b64 vcc, s[60:61], -1
	s_and_saveexec_b64 s[60:61], vcc
	s_cbranch_execnz .LBB8_854
.LBB8_869:                              ;   in Loop: Header=BB8_79 Depth=1
	s_or_b64 exec, exec, s[60:61]
	s_and_saveexec_b64 s[30:31], s[10:11]
	s_cbranch_execz .LBB8_863
.LBB8_870:                              ;   in Loop: Header=BB8_79 Depth=1
	s_and_saveexec_b64 vcc, s[46:47]
	s_xor_b64 s[60:61], exec, vcc
	s_cbranch_execz .LBB8_943
; %bb.871:                              ;   in Loop: Header=BB8_79 Depth=1
	s_and_saveexec_b64 s[62:63], s[16:17]
	s_cbranch_execz .LBB8_942
; %bb.872:                              ;   in Loop: Header=BB8_79 Depth=1
	s_mov_b64 s[66:67], exec
	v_mbcnt_lo_u32_b32 v2, s66, 0
	v_mbcnt_hi_u32_b32 v2, s67, v2
	v_cmp_eq_u32_e32 vcc, 0, v2
	s_waitcnt lgkmcnt(0)
	s_and_saveexec_b64 s[64:65], vcc
	s_cbranch_execz .LBB8_874
; %bb.873:                              ;   in Loop: Header=BB8_79 Depth=1
	s_bcnt1_i32_b64 vcc_lo, s[66:67]
	v_mov_b32_e32 v2, vcc_lo
	ds_add_u64 v0, v[2:3]
	s_trap 2
.LBB8_874:                              ;   in Loop: Header=BB8_79 Depth=1
	s_or_b64 exec, exec, s[64:65]
	s_trap 2
	ds_read_b64 v[10:11], v0
	v_lshl_add_u64 v[28:29], v[28:29], 0, v[34:35]
	s_waitcnt lgkmcnt(0)
	v_cmp_lt_u64_e32 vcc, v[10:11], v[28:29]
	s_and_saveexec_b64 s[64:65], vcc
	s_cbranch_execz .LBB8_941
; %bb.875:                              ;   in Loop: Header=BB8_79 Depth=1
	s_mov_b32 s76, 0
	s_mov_b64 s[66:67], 0
                                        ; implicit-def: $sgpr68_sgpr69
                                        ; implicit-def: $sgpr70_sgpr71
	s_branch .LBB8_877
.LBB8_876:                              ;   in Loop: Header=BB8_877 Depth=2
	s_or_b64 exec, exec, s[74:75]
	s_and_b64 vcc, exec, vcc
	s_or_b64 s[66:67], vcc, s[66:67]
	s_andn2_b64 vcc, s[68:69], exec
	s_and_b64 s[68:69], s[70:71], exec
	s_or_b64 s[68:69], vcc, s[68:69]
	s_andn2_b64 exec, exec, s[66:67]
	s_cbranch_execz .LBB8_939
.LBB8_877:                              ;   Parent Loop BB8_79 Depth=1
                                        ; =>  This Inner Loop Header: Depth=2
	s_add_i32 s76, s76, 1
	s_cmpk_lg_i32 s76, 0x2710
	s_cselect_b64 s[72:73], -1, 0
	s_and_b64 vcc, exec, s[72:73]
                                        ; implicit-def: $sgpr74_sgpr75
	s_cbranch_vccnz .LBB8_879
; %bb.878:                              ;   in Loop: Header=BB8_877 Depth=2
	s_trap 2
	ds_read_b64 v[10:11], v0
	s_andn2_b64 s[72:73], s[72:73], exec
	s_mov_b32 s76, 0
	s_mov_b64 s[74:75], -1
	s_waitcnt vmcnt(0) lgkmcnt(0)
	flat_load_dword v2, v[10:11] sc0 sc1
	s_waitcnt vmcnt(0) lgkmcnt(0)
	buffer_inv sc0 sc1
	v_cmp_eq_u32_e32 vcc, 0, v2
	s_and_b64 vcc, vcc, exec
	s_or_b64 s[72:73], s[72:73], vcc
.LBB8_879:                              ;   in Loop: Header=BB8_877 Depth=2
	s_andn2_b64 s[70:71], s[70:71], exec
	s_and_b64 s[74:75], s[74:75], exec
	s_mov_b64 vcc, -1
	s_or_b64 s[70:71], s[70:71], s[74:75]
	s_and_saveexec_b64 s[74:75], s[72:73]
	s_cbranch_execz .LBB8_876
; %bb.880:                              ;   in Loop: Header=BB8_877 Depth=2
	s_sleep 1
	s_trap 2
	ds_read_b64 v[10:11], v0
	s_andn2_b64 s[70:71], s[70:71], exec
	s_waitcnt lgkmcnt(0)
	v_cmp_ge_u64_e32 vcc, v[10:11], v[28:29]
	s_orn2_b64 vcc, vcc, exec
	s_branch .LBB8_876
.LBB8_881:                              ;   in Loop: Header=BB8_79 Depth=1
	s_or_b64 exec, exec, s[68:69]
	s_and_saveexec_b64 vcc, s[70:71]
	s_xor_b64 vcc, exec, vcc
	s_cbranch_execz .LBB8_883
; %bb.882:                              ;   in Loop: Header=BB8_79 Depth=1
	ds_write_b32 v0, v60
	s_trap 2
.LBB8_883:                              ;   in Loop: Header=BB8_79 Depth=1
	s_or_b64 exec, exec, s[66:67]
	;;#ASMSTART
	s_wakeup
	;;#ASMEND
.LBB8_884:                              ;   in Loop: Header=BB8_79 Depth=1
	s_or_b64 exec, exec, s[64:65]
.LBB8_885:                              ;   in Loop: Header=BB8_79 Depth=1
	s_andn2_saveexec_b64 vcc, s[62:63]
	s_cbranch_execz .LBB8_887
; %bb.886:                              ;   in Loop: Header=BB8_79 Depth=1
	;;#ASMSTART
	s_waitcnt lgkmcnt(0) vmcnt(0)
	;;#ASMEND
	s_barrier
.LBB8_887:                              ;   in Loop: Header=BB8_79 Depth=1
	s_or_b64 exec, exec, vcc
	v_and_b32_e32 v2, 16, v62
	s_or_b64 exec, exec, s[28:29]
	v_cmp_ne_u32_e32 vcc, 0, v2
	s_and_saveexec_b64 s[28:29], vcc
	s_cbranch_execz .LBB8_891
.LBB8_888:                              ;   in Loop: Header=BB8_79 Depth=1
	s_and_saveexec_b64 vcc, s[14:15]
	s_cbranch_execz .LBB8_890
; %bb.889:                              ;   in Loop: Header=BB8_79 Depth=1
	flat_store_dword v[52:53], v60 sc0 sc1
.LBB8_890:                              ;   in Loop: Header=BB8_79 Depth=1
	s_or_b64 exec, exec, vcc
	v_lshl_add_u64 v[8:9], v[8:9], 0, 1
	flat_store_dwordx2 v[20:21], v[8:9] sc0 sc1
.LBB8_891:                              ;   in Loop: Header=BB8_79 Depth=1
	s_or_b64 exec, exec, s[28:29]
	v_mov_b32_e32 v2, v58
.LBB8_892:                              ;   in Loop: Header=BB8_79 Depth=1
	s_or_b64 exec, exec, s[60:61]
	s_mov_b64 vcc, s[34:35]
	s_mov_b64 s[60:61], s[30:31]
	s_and_saveexec_b64 s[28:29], s[26:27]
	s_cbranch_execz .LBB8_979
; %bb.893:                              ;   in Loop: Header=BB8_79 Depth=1
	v_and_b32_e32 v10, 8, v62
	v_cmp_ne_u32_e32 vcc, 0, v10
	s_mov_b64 s[60:61], -1
	s_and_saveexec_b64 s[26:27], vcc
	s_cbranch_execz .LBB8_905
; %bb.894:                              ;   in Loop: Header=BB8_79 Depth=1
	v_lshl_add_u64 v[12:13], v[32:33], 0, 8
	v_lshl_add_u64 v[10:11], v[8:9], 0, 1
	v_cmp_lt_u64_e32 vcc, v[12:13], v[10:11]
	v_mov_b32_e32 v12, 1
	s_and_saveexec_b64 s[60:61], vcc
	s_cbranch_execz .LBB8_904
; %bb.895:                              ;   in Loop: Header=BB8_79 Depth=1
	s_mov_b64 s[62:63], 0
	v_mov_b32_e32 v12, 0
                                        ; implicit-def: $sgpr64_sgpr65
	s_branch .LBB8_899
.LBB8_896:                              ;   in Loop: Header=BB8_899 Depth=2
	s_or_b64 exec, exec, s[72:73]
	v_mov_b32_e32 v13, 0
	s_orn2_b64 s[70:71], s[70:71], exec
.LBB8_897:                              ;   in Loop: Header=BB8_899 Depth=2
	s_or_b64 exec, exec, s[68:69]
	s_andn2_b64 vcc, s[64:65], exec
	s_and_b64 s[64:65], s[70:71], exec
	s_or_b64 s[64:65], vcc, s[64:65]
	v_mov_b32_e32 v12, v13
.LBB8_898:                              ;   in Loop: Header=BB8_899 Depth=2
	s_or_b64 exec, exec, s[66:67]
	s_waitcnt vmcnt(0) lgkmcnt(0)
	v_lshl_add_u64 v[16:17], v[32:33], 0, 8
	v_cmp_ge_u64_e32 vcc, v[16:17], v[10:11]
	s_xor_b64 s[66:67], s[64:65], -1
	s_or_b64 vcc, s[66:67], vcc
	s_and_b64 vcc, exec, vcc
	s_or_b64 s[62:63], vcc, s[62:63]
	s_andn2_b64 exec, exec, s[62:63]
	s_cbranch_execz .LBB8_903
.LBB8_899:                              ;   Parent Loop BB8_79 Depth=1
                                        ; =>  This Inner Loop Header: Depth=2
	s_sleep 1
	flat_load_dwordx2 v[32:33], v[20:21] sc0 sc1
	v_and_b32_e32 v13, 64, v62
	v_cmp_eq_u32_e32 vcc, 0, v13
	s_andn2_b64 s[64:65], s[64:65], exec
	s_and_saveexec_b64 s[66:67], vcc
	s_cbranch_execz .LBB8_898
; %bb.900:                              ;   in Loop: Header=BB8_899 Depth=2
	v_add_u32_e32 v13, 1, v12
	v_cmp_lt_i32_e32 vcc, s81, v12
	s_mov_b64 s[70:71], -1
	s_and_saveexec_b64 s[68:69], vcc
	s_cbranch_execz .LBB8_897
; %bb.901:                              ;   in Loop: Header=BB8_899 Depth=2
	s_trap 2
	ds_read_b64 v[12:13], v0
	s_waitcnt vmcnt(0) lgkmcnt(0)
	flat_load_dword v12, v[12:13] sc0 sc1
	s_waitcnt vmcnt(0) lgkmcnt(0)
	buffer_inv sc0 sc1
	v_cmp_ne_u32_e32 vcc, 0, v12
	s_and_saveexec_b64 s[72:73], vcc
	s_cbranch_execz .LBB8_896
; %bb.902:                              ;   in Loop: Header=BB8_899 Depth=2
	v_or_b32_e32 v62, 64, v62
	s_xor_b64 s[70:71], exec, -1
	ds_write_b32 v0, v12
	s_trap 2
	s_branch .LBB8_896
.LBB8_903:                              ;   in Loop: Header=BB8_79 Depth=1
	s_or_b64 exec, exec, s[62:63]
	v_and_b32_e32 v12, 8, v62
.LBB8_904:                              ;   in Loop: Header=BB8_79 Depth=1
	s_or_b64 exec, exec, s[60:61]
	v_cmp_eq_u32_e32 vcc, 0, v12
	s_orn2_b64 s[60:61], vcc, exec
	;;#ASMSTART
	s_wakeup
	;;#ASMEND
.LBB8_905:                              ;   in Loop: Header=BB8_79 Depth=1
	s_or_b64 exec, exec, s[26:27]
	v_sub_u32_e32 v2, v31, v2
	s_xor_b64 s[26:27], s[60:61], -1
	v_min_i32_e32 v10, v58, v2
	s_and_saveexec_b64 s[60:61], s[26:27]
	s_cbranch_execz .LBB8_927
; %bb.906:                              ;   in Loop: Header=BB8_79 Depth=1
	v_and_b32_e32 v2, 0x100, v62
	v_cmp_ne_u32_e32 vcc, 0, v2
	v_and_b32_e32 v2, 7, v8
	s_mov_b64 s[26:27], -1
                                        ; implicit-def: $vgpr12_vgpr13
	s_and_saveexec_b64 s[62:63], vcc
	s_cbranch_execz .LBB8_910
; %bb.907:                              ;   in Loop: Header=BB8_79 Depth=1
	v_mad_u64_u32 v[16:17], s[26:27], v2, 24, v[6:7]
	flat_load_dword v12, v[16:17]
	v_ashrrev_i32_e32 v11, 31, v10
	flat_store_dwordx2 v[16:17], v[10:11] offset:8
	s_waitcnt vmcnt(0) lgkmcnt(0)
	v_cmp_ne_u32_e32 vcc, 1, v12
	v_cmp_eq_u32_e64 s[26:27], 1, v12
                                        ; implicit-def: $vgpr12_vgpr13
	s_and_saveexec_b64 s[64:65], s[26:27]
	s_cbranch_execz .LBB8_909
; %bb.908:                              ;   in Loop: Header=BB8_79 Depth=1
	flat_load_dword v12, v[16:17] offset:4 sc0 sc1
	s_waitcnt vmcnt(0) lgkmcnt(0)
	v_ashrrev_i32_e32 v13, 31, v12
.LBB8_909:                              ;   in Loop: Header=BB8_79 Depth=1
	s_or_b64 exec, exec, s[64:65]
	s_orn2_b64 s[26:27], vcc, exec
.LBB8_910:                              ;   in Loop: Header=BB8_79 Depth=1
	s_or_b64 exec, exec, s[62:63]
	s_and_saveexec_b64 vcc, s[26:27]
; %bb.911:                              ;   in Loop: Header=BB8_79 Depth=1
	v_mad_i64_i32 v[12:13], s[26:27], v2, v54, 0
; %bb.912:                              ;   in Loop: Header=BB8_79 Depth=1
	s_or_b64 exec, exec, vcc
	v_and_b32_e32 v2, 0x2000, v62
	v_lshl_add_u64 v[12:13], v[40:41], 0, v[12:13]
	v_cmp_ne_u32_e32 vcc, 0, v2
	ds_write_b64 v0, v[12:13] offset:784
	s_and_saveexec_b64 s[26:27], vcc
	s_cbranch_execz .LBB8_914
; %bb.913:                              ;   in Loop: Header=BB8_79 Depth=1
	ds_read_b64 v[12:13], v0 offset:584
	s_waitcnt lgkmcnt(0)
	v_lshl_add_u64 v[12:13], v[12:13], 0, 1
	ds_write_b64 v0, v[12:13] offset:584
.LBB8_914:                              ;   in Loop: Header=BB8_79 Depth=1
	s_or_b64 exec, exec, s[26:27]
	v_lshl_add_u64 v[8:9], v[8:9], 0, 1
	s_or_b64 exec, exec, s[60:61]
	s_and_saveexec_b64 s[26:27], s[10:11]
	s_cbranch_execnz .LBB8_928
.LBB8_915:                              ;   in Loop: Header=BB8_79 Depth=1
	s_or_b64 exec, exec, s[26:27]
                                        ; implicit-def: $vgpr2
	s_and_saveexec_b64 s[26:27], s[54:55]
	s_xor_b64 s[26:27], exec, s[26:27]
	s_cbranch_execz .LBB8_972
.LBB8_916:                              ;   in Loop: Header=BB8_79 Depth=1
	s_and_saveexec_b64 vcc, s[46:47]
	s_xor_b64 s[60:61], exec, vcc
	s_cbranch_execz .LBB8_962
; %bb.917:                              ;   in Loop: Header=BB8_79 Depth=1
	s_and_saveexec_b64 s[62:63], s[16:17]
	s_cbranch_execz .LBB8_961
; %bb.918:                              ;   in Loop: Header=BB8_79 Depth=1
	s_mov_b64 s[66:67], exec
	v_mbcnt_lo_u32_b32 v2, s66, 0
	v_mbcnt_hi_u32_b32 v2, s67, v2
	v_cmp_eq_u32_e32 vcc, 0, v2
	;;#ASMSTART
	s_waitcnt lgkmcnt(0) vmcnt(0)
	;;#ASMEND
	s_and_saveexec_b64 s[64:65], vcc
	s_cbranch_execz .LBB8_920
; %bb.919:                              ;   in Loop: Header=BB8_79 Depth=1
	s_bcnt1_i32_b64 vcc_lo, s[66:67]
	v_mov_b32_e32 v2, vcc_lo
	ds_add_u64 v0, v[2:3]
	s_trap 2
.LBB8_920:                              ;   in Loop: Header=BB8_79 Depth=1
	s_or_b64 exec, exec, s[64:65]
	s_trap 2
	ds_read_b64 v[10:11], v0
	v_lshl_add_u64 v[28:29], v[28:29], 0, v[34:35]
	s_waitcnt lgkmcnt(0)
	v_cmp_lt_u64_e32 vcc, v[10:11], v[28:29]
	s_and_saveexec_b64 s[64:65], vcc
	s_cbranch_execz .LBB8_960
; %bb.921:                              ;   in Loop: Header=BB8_79 Depth=1
	s_mov_b32 s76, 0
	s_mov_b64 s[66:67], 0
                                        ; implicit-def: $sgpr68_sgpr69
                                        ; implicit-def: $sgpr70_sgpr71
	s_branch .LBB8_923
.LBB8_922:                              ;   in Loop: Header=BB8_923 Depth=2
	s_or_b64 exec, exec, s[74:75]
	s_and_b64 vcc, exec, vcc
	s_or_b64 s[66:67], vcc, s[66:67]
	s_andn2_b64 vcc, s[68:69], exec
	s_and_b64 s[68:69], s[70:71], exec
	s_or_b64 s[68:69], vcc, s[68:69]
	s_andn2_b64 exec, exec, s[66:67]
	s_cbranch_execz .LBB8_958
.LBB8_923:                              ;   Parent Loop BB8_79 Depth=1
                                        ; =>  This Inner Loop Header: Depth=2
	s_add_i32 s76, s76, 1
	s_cmpk_lg_i32 s76, 0x2710
	s_cselect_b64 s[72:73], -1, 0
	s_and_b64 vcc, exec, s[72:73]
                                        ; implicit-def: $sgpr74_sgpr75
	s_cbranch_vccnz .LBB8_925
; %bb.924:                              ;   in Loop: Header=BB8_923 Depth=2
	s_trap 2
	ds_read_b64 v[10:11], v0
	s_andn2_b64 s[72:73], s[72:73], exec
	s_mov_b32 s76, 0
	s_mov_b64 s[74:75], -1
	s_waitcnt vmcnt(0) lgkmcnt(0)
	flat_load_dword v2, v[10:11] sc0 sc1
	s_waitcnt vmcnt(0) lgkmcnt(0)
	buffer_inv sc0 sc1
	v_cmp_eq_u32_e32 vcc, 0, v2
	s_and_b64 vcc, vcc, exec
	s_or_b64 s[72:73], s[72:73], vcc
.LBB8_925:                              ;   in Loop: Header=BB8_923 Depth=2
	s_andn2_b64 s[70:71], s[70:71], exec
	s_and_b64 s[74:75], s[74:75], exec
	s_mov_b64 vcc, -1
	s_or_b64 s[70:71], s[70:71], s[74:75]
	s_and_saveexec_b64 s[74:75], s[72:73]
	s_cbranch_execz .LBB8_922
; %bb.926:                              ;   in Loop: Header=BB8_923 Depth=2
	s_sleep 1
	s_trap 2
	ds_read_b64 v[10:11], v0
	s_andn2_b64 s[70:71], s[70:71], exec
	s_waitcnt lgkmcnt(0)
	v_cmp_ge_u64_e32 vcc, v[10:11], v[28:29]
	s_orn2_b64 vcc, vcc, exec
	s_branch .LBB8_922
.LBB8_927:                              ;   in Loop: Header=BB8_79 Depth=1
	s_or_b64 exec, exec, s[60:61]
	s_and_saveexec_b64 s[26:27], s[10:11]
	s_cbranch_execz .LBB8_915
.LBB8_928:                              ;   in Loop: Header=BB8_79 Depth=1
	s_and_saveexec_b64 vcc, s[46:47]
	s_xor_b64 s[60:61], exec, vcc
	s_cbranch_execz .LBB8_969
; %bb.929:                              ;   in Loop: Header=BB8_79 Depth=1
	s_and_saveexec_b64 s[62:63], s[16:17]
	s_cbranch_execz .LBB8_968
; %bb.930:                              ;   in Loop: Header=BB8_79 Depth=1
	s_mov_b64 s[66:67], exec
	v_mbcnt_lo_u32_b32 v2, s66, 0
	v_mbcnt_hi_u32_b32 v2, s67, v2
	v_cmp_eq_u32_e32 vcc, 0, v2
	s_waitcnt lgkmcnt(0)
	s_and_saveexec_b64 s[64:65], vcc
	s_cbranch_execz .LBB8_932
; %bb.931:                              ;   in Loop: Header=BB8_79 Depth=1
	s_bcnt1_i32_b64 vcc_lo, s[66:67]
	v_mov_b32_e32 v2, vcc_lo
	ds_add_u64 v0, v[2:3]
	s_trap 2
.LBB8_932:                              ;   in Loop: Header=BB8_79 Depth=1
	s_or_b64 exec, exec, s[64:65]
	s_trap 2
	ds_read_b64 v[12:13], v0
	v_lshl_add_u64 v[28:29], v[28:29], 0, v[34:35]
	s_waitcnt lgkmcnt(0)
	v_cmp_lt_u64_e32 vcc, v[12:13], v[28:29]
	s_and_saveexec_b64 s[64:65], vcc
	s_cbranch_execz .LBB8_967
; %bb.933:                              ;   in Loop: Header=BB8_79 Depth=1
	s_mov_b32 s76, 0
	s_mov_b64 s[66:67], 0
                                        ; implicit-def: $sgpr68_sgpr69
                                        ; implicit-def: $sgpr70_sgpr71
	s_branch .LBB8_935
.LBB8_934:                              ;   in Loop: Header=BB8_935 Depth=2
	s_or_b64 exec, exec, s[74:75]
	s_and_b64 vcc, exec, vcc
	s_or_b64 s[66:67], vcc, s[66:67]
	s_andn2_b64 vcc, s[68:69], exec
	s_and_b64 s[68:69], s[70:71], exec
	s_or_b64 s[68:69], vcc, s[68:69]
	s_andn2_b64 exec, exec, s[66:67]
	s_cbranch_execz .LBB8_965
.LBB8_935:                              ;   Parent Loop BB8_79 Depth=1
                                        ; =>  This Inner Loop Header: Depth=2
	s_add_i32 s76, s76, 1
	s_cmpk_lg_i32 s76, 0x2710
	s_cselect_b64 s[72:73], -1, 0
	s_and_b64 vcc, exec, s[72:73]
                                        ; implicit-def: $sgpr74_sgpr75
	s_cbranch_vccnz .LBB8_937
; %bb.936:                              ;   in Loop: Header=BB8_935 Depth=2
	s_trap 2
	ds_read_b64 v[12:13], v0
	s_andn2_b64 s[72:73], s[72:73], exec
	s_mov_b32 s76, 0
	s_mov_b64 s[74:75], -1
	s_waitcnt vmcnt(0) lgkmcnt(0)
	flat_load_dword v2, v[12:13] sc0 sc1
	s_waitcnt vmcnt(0) lgkmcnt(0)
	buffer_inv sc0 sc1
	v_cmp_eq_u32_e32 vcc, 0, v2
	s_and_b64 vcc, vcc, exec
	s_or_b64 s[72:73], s[72:73], vcc
.LBB8_937:                              ;   in Loop: Header=BB8_935 Depth=2
	s_andn2_b64 s[70:71], s[70:71], exec
	s_and_b64 s[74:75], s[74:75], exec
	s_mov_b64 vcc, -1
	s_or_b64 s[70:71], s[70:71], s[74:75]
	s_and_saveexec_b64 s[74:75], s[72:73]
	s_cbranch_execz .LBB8_934
; %bb.938:                              ;   in Loop: Header=BB8_935 Depth=2
	s_sleep 1
	s_trap 2
	ds_read_b64 v[12:13], v0
	s_andn2_b64 s[70:71], s[70:71], exec
	s_waitcnt lgkmcnt(0)
	v_cmp_ge_u64_e32 vcc, v[12:13], v[28:29]
	s_orn2_b64 vcc, vcc, exec
	s_branch .LBB8_934
.LBB8_939:                              ;   in Loop: Header=BB8_79 Depth=1
	s_or_b64 exec, exec, s[66:67]
	s_and_saveexec_b64 vcc, s[68:69]
	s_xor_b64 vcc, exec, vcc
	s_cbranch_execz .LBB8_941
; %bb.940:                              ;   in Loop: Header=BB8_79 Depth=1
	ds_write_b32 v0, v60
	s_trap 2
.LBB8_941:                              ;   in Loop: Header=BB8_79 Depth=1
	s_or_b64 exec, exec, s[64:65]
	;;#ASMSTART
	s_wakeup
	;;#ASMEND
.LBB8_942:                              ;   in Loop: Header=BB8_79 Depth=1
	s_or_b64 exec, exec, s[62:63]
.LBB8_943:                              ;   in Loop: Header=BB8_79 Depth=1
	s_andn2_saveexec_b64 vcc, s[60:61]
	s_cbranch_execz .LBB8_945
; %bb.944:                              ;   in Loop: Header=BB8_79 Depth=1
	s_waitcnt lgkmcnt(0)
	s_barrier
.LBB8_945:                              ;   in Loop: Header=BB8_79 Depth=1
	s_or_b64 exec, exec, vcc
	s_or_b64 exec, exec, s[30:31]
	s_and_saveexec_b64 vcc, s[24:25]
	s_xor_b64 s[30:31], exec, vcc
	s_cbranch_execnz .LBB8_864
.LBB8_946:                              ;   in Loop: Header=BB8_79 Depth=1
	s_andn2_saveexec_b64 s[30:31], s[30:31]
	s_cbranch_execz .LBB8_990
.LBB8_947:                              ;   in Loop: Header=BB8_79 Depth=1
	s_and_saveexec_b64 vcc, s[46:47]
	s_xor_b64 s[60:61], exec, vcc
	s_cbranch_execz .LBB8_987
; %bb.948:                              ;   in Loop: Header=BB8_79 Depth=1
	s_and_saveexec_b64 s[62:63], s[16:17]
	s_cbranch_execz .LBB8_986
; %bb.949:                              ;   in Loop: Header=BB8_79 Depth=1
	s_mov_b64 s[66:67], exec
	v_mbcnt_lo_u32_b32 v2, s66, 0
	v_mbcnt_hi_u32_b32 v2, s67, v2
	v_cmp_eq_u32_e32 vcc, 0, v2
	;;#ASMSTART
	s_waitcnt lgkmcnt(0) vmcnt(0)
	;;#ASMEND
	s_and_saveexec_b64 s[64:65], vcc
	s_cbranch_execz .LBB8_951
; %bb.950:                              ;   in Loop: Header=BB8_79 Depth=1
	s_bcnt1_i32_b64 vcc_lo, s[66:67]
	v_mov_b32_e32 v2, vcc_lo
	ds_add_u64 v0, v[2:3]
	s_trap 2
.LBB8_951:                              ;   in Loop: Header=BB8_79 Depth=1
	s_or_b64 exec, exec, s[64:65]
	s_trap 2
	ds_read_b64 v[10:11], v0
	v_lshl_add_u64 v[28:29], v[28:29], 0, v[34:35]
	s_waitcnt lgkmcnt(0)
	v_cmp_lt_u64_e32 vcc, v[10:11], v[28:29]
	s_and_saveexec_b64 s[64:65], vcc
	s_cbranch_execz .LBB8_985
; %bb.952:                              ;   in Loop: Header=BB8_79 Depth=1
	s_mov_b32 s76, 0
	s_mov_b64 s[66:67], 0
                                        ; implicit-def: $sgpr68_sgpr69
                                        ; implicit-def: $sgpr70_sgpr71
	s_branch .LBB8_954
.LBB8_953:                              ;   in Loop: Header=BB8_954 Depth=2
	s_or_b64 exec, exec, s[74:75]
	s_and_b64 vcc, exec, vcc
	s_or_b64 s[66:67], vcc, s[66:67]
	s_andn2_b64 vcc, s[68:69], exec
	s_and_b64 s[68:69], s[70:71], exec
	s_or_b64 s[68:69], vcc, s[68:69]
	s_andn2_b64 exec, exec, s[66:67]
	s_cbranch_execz .LBB8_983
.LBB8_954:                              ;   Parent Loop BB8_79 Depth=1
                                        ; =>  This Inner Loop Header: Depth=2
	s_add_i32 s76, s76, 1
	s_cmpk_lg_i32 s76, 0x2710
	s_cselect_b64 s[72:73], -1, 0
	s_and_b64 vcc, exec, s[72:73]
                                        ; implicit-def: $sgpr74_sgpr75
	s_cbranch_vccnz .LBB8_956
; %bb.955:                              ;   in Loop: Header=BB8_954 Depth=2
	s_trap 2
	ds_read_b64 v[10:11], v0
	s_andn2_b64 s[72:73], s[72:73], exec
	s_mov_b32 s76, 0
	s_mov_b64 s[74:75], -1
	s_waitcnt vmcnt(0) lgkmcnt(0)
	flat_load_dword v2, v[10:11] sc0 sc1
	s_waitcnt vmcnt(0) lgkmcnt(0)
	buffer_inv sc0 sc1
	v_cmp_eq_u32_e32 vcc, 0, v2
	s_and_b64 vcc, vcc, exec
	s_or_b64 s[72:73], s[72:73], vcc
.LBB8_956:                              ;   in Loop: Header=BB8_954 Depth=2
	s_andn2_b64 s[70:71], s[70:71], exec
	s_and_b64 s[74:75], s[74:75], exec
	s_mov_b64 vcc, -1
	s_or_b64 s[70:71], s[70:71], s[74:75]
	s_and_saveexec_b64 s[74:75], s[72:73]
	s_cbranch_execz .LBB8_953
; %bb.957:                              ;   in Loop: Header=BB8_954 Depth=2
	s_sleep 1
	s_trap 2
	ds_read_b64 v[10:11], v0
	s_andn2_b64 s[70:71], s[70:71], exec
	s_waitcnt lgkmcnt(0)
	v_cmp_ge_u64_e32 vcc, v[10:11], v[28:29]
	s_orn2_b64 vcc, vcc, exec
	s_branch .LBB8_953
.LBB8_958:                              ;   in Loop: Header=BB8_79 Depth=1
	s_or_b64 exec, exec, s[66:67]
	s_and_saveexec_b64 vcc, s[68:69]
	s_xor_b64 vcc, exec, vcc
	s_cbranch_execz .LBB8_960
; %bb.959:                              ;   in Loop: Header=BB8_79 Depth=1
	ds_write_b32 v0, v60
	s_trap 2
.LBB8_960:                              ;   in Loop: Header=BB8_79 Depth=1
	s_or_b64 exec, exec, s[64:65]
	;;#ASMSTART
	s_wakeup
	;;#ASMEND
.LBB8_961:                              ;   in Loop: Header=BB8_79 Depth=1
	s_or_b64 exec, exec, s[62:63]
.LBB8_962:                              ;   in Loop: Header=BB8_79 Depth=1
	s_andn2_saveexec_b64 vcc, s[60:61]
	s_cbranch_execz .LBB8_964
; %bb.963:                              ;   in Loop: Header=BB8_79 Depth=1
	;;#ASMSTART
	s_waitcnt lgkmcnt(0) vmcnt(0)
	;;#ASMEND
	s_barrier
.LBB8_964:                              ;   in Loop: Header=BB8_79 Depth=1
	s_or_b64 exec, exec, vcc
	v_and_b32_e32 v2, 16, v62
                                        ; implicit-def: $vgpr10
	s_andn2_saveexec_b64 s[26:27], s[26:27]
	s_cbranch_execz .LBB8_976
	s_branch .LBB8_973
.LBB8_965:                              ;   in Loop: Header=BB8_79 Depth=1
	s_or_b64 exec, exec, s[66:67]
	s_and_saveexec_b64 vcc, s[68:69]
	s_xor_b64 vcc, exec, vcc
	s_cbranch_execz .LBB8_967
; %bb.966:                              ;   in Loop: Header=BB8_79 Depth=1
	ds_write_b32 v0, v60
	s_trap 2
.LBB8_967:                              ;   in Loop: Header=BB8_79 Depth=1
	s_or_b64 exec, exec, s[64:65]
	;;#ASMSTART
	s_wakeup
	;;#ASMEND
.LBB8_968:                              ;   in Loop: Header=BB8_79 Depth=1
	s_or_b64 exec, exec, s[62:63]
.LBB8_969:                              ;   in Loop: Header=BB8_79 Depth=1
	s_andn2_saveexec_b64 vcc, s[60:61]
	s_cbranch_execz .LBB8_971
; %bb.970:                              ;   in Loop: Header=BB8_79 Depth=1
	s_waitcnt lgkmcnt(0)
	s_barrier
.LBB8_971:                              ;   in Loop: Header=BB8_79 Depth=1
	s_or_b64 exec, exec, vcc
	s_or_b64 exec, exec, s[26:27]
                                        ; implicit-def: $vgpr2
	s_and_saveexec_b64 s[26:27], s[54:55]
	s_xor_b64 s[26:27], exec, s[26:27]
	s_cbranch_execnz .LBB8_916
.LBB8_972:                              ;   in Loop: Header=BB8_79 Depth=1
	s_andn2_saveexec_b64 s[26:27], s[26:27]
	s_cbranch_execz .LBB8_976
.LBB8_973:                              ;   in Loop: Header=BB8_79 Depth=1
	s_trap 2
	ds_read_b32 v11, v0
	v_cmp_lt_i32_e32 vcc, 0, v10
	v_and_b32_e32 v10, 16, v62
	v_and_b32_e32 v2, 16, v62
	s_waitcnt lgkmcnt(0)
	v_readfirstlane_b32 s60, v11
	s_cmp_eq_u32 s60, 0
	s_cselect_b64 s[60:61], -1, 0
	s_and_b64 s[60:61], vcc, s[60:61]
	v_cmp_ne_u32_e32 vcc, 0, v10
	s_and_b64 s[60:61], vcc, s[60:61]
	s_and_saveexec_b64 vcc, s[60:61]
	s_cbranch_execz .LBB8_975
; %bb.974:                              ;   in Loop: Header=BB8_79 Depth=1
	v_mov_b32_e32 v2, 1
	buffer_wbl2 sc1
	s_waitcnt vmcnt(0)
	buffer_inv sc1
.LBB8_975:                              ;   in Loop: Header=BB8_79 Depth=1
	s_or_b64 exec, exec, vcc
.LBB8_976:                              ;   in Loop: Header=BB8_79 Depth=1
	s_or_b64 exec, exec, s[26:27]
	v_cmp_ne_u32_e32 vcc, 0, v2
	s_mov_b64 s[26:27], s[34:35]
	s_mov_b64 s[60:61], s[30:31]
	s_and_saveexec_b64 s[62:63], vcc
; %bb.977:                              ;   in Loop: Header=BB8_79 Depth=1
	s_andn2_b64 s[26:27], s[30:31], exec
	s_and_b64 vcc, s[12:13], exec
	s_or_b64 s[60:61], s[26:27], vcc
	s_andn2_b64 s[26:27], s[34:35], exec
	s_and_b64 vcc, s[14:15], exec
	s_or_b64 s[26:27], s[26:27], vcc
; %bb.978:                              ;   in Loop: Header=BB8_79 Depth=1
	s_or_b64 exec, exec, s[62:63]
	s_andn2_b64 vcc, s[30:31], exec
	s_and_b64 s[60:61], s[60:61], exec
	s_or_b64 s[60:61], vcc, s[60:61]
	s_andn2_b64 vcc, s[34:35], exec
	s_and_b64 s[26:27], s[26:27], exec
	s_or_b64 vcc, vcc, s[26:27]
.LBB8_979:                              ;   in Loop: Header=BB8_79 Depth=1
	s_or_b64 exec, exec, s[28:29]
	s_andn2_b64 s[26:27], s[30:31], exec
	s_and_b64 s[28:29], s[60:61], exec
	s_or_b64 s[30:31], s[26:27], s[28:29]
	s_andn2_b64 s[26:27], s[34:35], exec
	s_and_b64 s[28:29], vcc, exec
	s_or_b64 s[34:35], s[26:27], s[28:29]
.LBB8_980:                              ;   in Loop: Header=BB8_79 Depth=1
	s_or_b64 exec, exec, s[36:37]
	s_and_saveexec_b64 s[26:27], s[34:35]
	s_cbranch_execz .LBB8_982
; %bb.981:                              ;   in Loop: Header=BB8_79 Depth=1
	s_or_b64 s[30:31], s[30:31], exec
	flat_store_dword v[52:53], v60 sc0 sc1
.LBB8_982:                              ;   in Loop: Header=BB8_79 Depth=1
	s_or_b64 exec, exec, s[26:27]
	s_andn2_b64 s[26:27], s[56:57], exec
	s_and_b64 s[28:29], s[30:31], exec
	s_or_b64 s[56:57], s[26:27], s[28:29]
	s_or_b64 exec, exec, s[58:59]
	s_and_saveexec_b64 s[26:27], s[56:57]
	s_cbranch_execz .LBB8_78
	s_branch .LBB8_994
.LBB8_983:                              ;   in Loop: Header=BB8_79 Depth=1
	s_or_b64 exec, exec, s[66:67]
	s_and_saveexec_b64 vcc, s[68:69]
	s_xor_b64 vcc, exec, vcc
	s_cbranch_execz .LBB8_985
; %bb.984:                              ;   in Loop: Header=BB8_79 Depth=1
	ds_write_b32 v0, v60
	s_trap 2
.LBB8_985:                              ;   in Loop: Header=BB8_79 Depth=1
	s_or_b64 exec, exec, s[64:65]
	;;#ASMSTART
	s_wakeup
	;;#ASMEND
.LBB8_986:                              ;   in Loop: Header=BB8_79 Depth=1
	s_or_b64 exec, exec, s[62:63]
.LBB8_987:                              ;   in Loop: Header=BB8_79 Depth=1
	s_andn2_saveexec_b64 vcc, s[60:61]
	s_cbranch_execz .LBB8_989
; %bb.988:                              ;   in Loop: Header=BB8_79 Depth=1
	;;#ASMSTART
	s_waitcnt lgkmcnt(0) vmcnt(0)
	;;#ASMEND
	s_barrier
.LBB8_989:                              ;   in Loop: Header=BB8_79 Depth=1
	s_or_b64 exec, exec, vcc
.LBB8_990:                              ;   in Loop: Header=BB8_79 Depth=1
	s_or_b64 exec, exec, s[30:31]
	v_and_b32_e32 v2, 32, v62
	v_cmp_ne_u32_e32 vcc, 0, v2
	s_andn2_b64 s[30:31], s[34:35], exec
	s_and_b64 vcc, vcc, exec
	s_or_b64 vcc, s[30:31], vcc
.LBB8_991:                              ;   in Loop: Header=BB8_79 Depth=1
	s_or_b64 exec, exec, s[56:57]
	s_andn2_b64 s[30:31], s[34:35], exec
	s_and_b64 vcc, vcc, exec
	s_or_b64 s[34:35], s[30:31], vcc
.LBB8_992:                              ;   in Loop: Header=BB8_79 Depth=1
	s_or_b64 exec, exec, s[36:37]
	s_and_b64 s[56:57], s[34:35], exec
                                        ; implicit-def: $vgpr58
                                        ; implicit-def: $vgpr31
                                        ; implicit-def: $vgpr10_vgpr11
	s_andn2_saveexec_b64 s[58:59], s[58:59]
	s_cbranch_execnz .LBB8_88
.LBB8_993:                              ;   in Loop: Header=BB8_79 Depth=1
	s_or_b64 exec, exec, s[58:59]
	s_and_saveexec_b64 s[26:27], s[56:57]
	s_cbranch_execz .LBB8_78
.LBB8_994:                              ;   in Loop: Header=BB8_79 Depth=1
	v_lshl_add_u64 v[8:9], v[8:9], 0, 1
	flat_store_dwordx2 v[20:21], v[8:9] sc0 sc1
	s_branch .LBB8_78
.LBB8_995:
	s_or_b64 exec, exec, s[44:45]
	v_accvgpr_read_b32 v25, a7
	v_accvgpr_read_b32 v31, a0
	;; [unrolled: 1-line block ×5, first 2 shown]
.LBB8_996:
	s_or_b64 exec, exec, s[42:43]
	v_and_b32_e32 v0, 0x800, v62
	v_cmp_eq_u32_e32 vcc, 0, v0
	s_and_saveexec_b64 s[0:1], vcc
	s_cbranch_execz .LBB8_1031
; %bb.997:
	v_and_b32_e32 v0, 48, v62
	v_cmp_ne_u32_e32 vcc, 0, v0
	s_and_saveexec_b64 s[2:3], vcc
	s_cbranch_execz .LBB8_999
; %bb.998:
	s_waitcnt lgkmcnt(0)
	flat_store_dwordx2 v[24:25], v[8:9] offset:104
.LBB8_999:
	s_or_b64 exec, exec, s[2:3]
	s_movk_i32 s2, 0x88
	v_and_b32_e32 v0, 0x88, v62
	v_cmp_eq_u32_e32 vcc, s2, v0
	s_and_saveexec_b64 s[2:3], vcc
	s_cbranch_execz .LBB8_1011
; %bb.1000:
	s_waitcnt lgkmcnt(0)
	v_add_u32_e32 v0, -1, v8
	v_and_b32_e32 v0, 7, v0
	v_mad_u64_u32 v[0:1], s[4:5], v0, 24, v[6:7]
	v_lshl_add_u64 v[0:1], v[0:1], 0, 8
	s_mov_b64 s[4:5], 0
	v_mov_b32_e32 v2, 0
	s_movk_i32 s20, 0x270e
                                        ; implicit-def: $sgpr6_sgpr7
	s_branch .LBB8_1005
.LBB8_1001:                             ;   in Loop: Header=BB8_1005 Depth=1
	s_or_b64 exec, exec, s[18:19]
	v_mov_b32_e32 v3, 0
	s_orn2_b64 s[16:17], s[16:17], exec
.LBB8_1002:                             ;   in Loop: Header=BB8_1005 Depth=1
	s_or_b64 exec, exec, s[14:15]
	s_and_b64 s[14:15], s[16:17], exec
	v_mov_b32_e32 v2, v3
.LBB8_1003:                             ;   in Loop: Header=BB8_1005 Depth=1
	s_or_b64 exec, exec, s[12:13]
	s_xor_b64 s[12:13], s[14:15], -1
	s_andn2_b64 s[6:7], s[6:7], exec
	s_and_b64 s[12:13], s[12:13], exec
	s_or_b64 s[6:7], s[6:7], s[12:13]
.LBB8_1004:                             ;   in Loop: Header=BB8_1005 Depth=1
	s_or_b64 exec, exec, s[10:11]
	s_and_b64 s[10:11], exec, s[6:7]
	s_or_b64 s[4:5], s[10:11], s[4:5]
	s_andn2_b64 exec, exec, s[4:5]
	s_cbranch_execz .LBB8_1010
.LBB8_1005:                             ; =>This Inner Loop Header: Depth=1
	flat_load_dwordx2 v[4:5], v[0:1] sc0 sc1
	s_waitcnt vmcnt(0)
	s_or_b64 s[6:7], s[6:7], exec
	s_waitcnt lgkmcnt(0)
	v_cmp_ne_u64_e32 vcc, -1, v[4:5]
	s_and_saveexec_b64 s[10:11], vcc
	s_cbranch_execz .LBB8_1004
; %bb.1006:                             ;   in Loop: Header=BB8_1005 Depth=1
	v_and_b32_e32 v3, 64, v62
	v_cmp_eq_u32_e32 vcc, 0, v3
	s_mov_b64 s[14:15], 0
	s_and_saveexec_b64 s[12:13], vcc
	s_cbranch_execz .LBB8_1003
; %bb.1007:                             ;   in Loop: Header=BB8_1005 Depth=1
	v_add_u32_e32 v3, 1, v2
	v_cmp_lt_i32_e32 vcc, s20, v2
	s_mov_b64 s[16:17], -1
	s_and_saveexec_b64 s[14:15], vcc
	s_cbranch_execz .LBB8_1002
; %bb.1008:                             ;   in Loop: Header=BB8_1005 Depth=1
	s_trap 2
	ds_read_b64 v[2:3], v0
	s_waitcnt lgkmcnt(0)
	flat_load_dword v2, v[2:3] sc0 sc1
	s_waitcnt vmcnt(0) lgkmcnt(0)
	buffer_inv sc0 sc1
	v_cmp_ne_u32_e32 vcc, 0, v2
	s_and_saveexec_b64 s[18:19], vcc
	s_cbranch_execz .LBB8_1001
; %bb.1009:                             ;   in Loop: Header=BB8_1005 Depth=1
	v_or_b32_e32 v62, 64, v62
	s_xor_b64 s[16:17], exec, -1
	ds_write_b32 v0, v2
	s_trap 2
	s_branch .LBB8_1001
.LBB8_1010:
	s_or_b64 exec, exec, s[4:5]
.LBB8_1011:
	s_or_b64 exec, exec, s[2:3]
	v_and_b32_e32 v0, 0x2000, v62
	v_cmp_ne_u32_e32 vcc, 0, v0
	s_and_saveexec_b64 s[2:3], vcc
	s_cbranch_execz .LBB8_1013
; %bb.1012:
	s_trap 2
	ds_read_b64 v[0:1], v0
	v_accvgpr_read_b32 v2, a4
	v_accvgpr_read_b32 v3, a5
	s_waitcnt lgkmcnt(0)
	flat_store_dwordx2 v[2:3], v[0:1] offset:16
.LBB8_1013:
	s_or_b64 exec, exec, s[2:3]
	v_cmp_ne_u32_e32 vcc, 64, v27
	s_and_b64 exec, exec, vcc
	s_cbranch_execz .LBB8_1031
; %bb.1014:
	v_cmp_ne_u32_sdwa s[2:3], v27, v22 src0_sel:DWORD src1_sel:WORD_0
	s_and_saveexec_b64 s[4:5], s[2:3]
	s_xor_b64 s[2:3], exec, s[4:5]
	s_cbranch_execz .LBB8_1029
; %bb.1015:
	v_and_b32_e32 v0, 63, v31
	v_cmp_eq_u32_e32 vcc, 0, v0
	s_and_saveexec_b64 s[4:5], vcc
	s_cbranch_execz .LBB8_1028
; %bb.1016:
	s_mov_b64 s[10:11], exec
	v_mbcnt_lo_u32_b32 v0, s10, 0
	v_mbcnt_hi_u32_b32 v0, s11, v0
	v_cmp_eq_u32_e32 vcc, 0, v0
	s_waitcnt lgkmcnt(0)
	s_and_saveexec_b64 s[6:7], vcc
	s_cbranch_execz .LBB8_1018
; %bb.1017:
	s_bcnt1_i32_b64 s10, s[10:11]
	v_mov_b32_e32 v0, s10
	v_mov_b32_e32 v1, 0
	ds_add_u64 v0, v[0:1]
	s_trap 2
.LBB8_1018:
	s_or_b64 exec, exec, s[6:7]
	v_ashrrev_i32_e32 v0, 31, v27
	v_lshrrev_b32_e32 v0, 26, v0
	s_trap 2
	ds_read_b64 v[2:3], v0
	v_add_u32_e32 v0, v27, v0
	v_ashrrev_i32_e32 v0, 6, v0
	v_ashrrev_i32_e32 v1, 31, v0
	v_lshl_add_u64 v[0:1], v[28:29], 0, v[0:1]
	s_waitcnt lgkmcnt(0)
	v_cmp_lt_u64_e32 vcc, v[2:3], v[0:1]
	s_and_saveexec_b64 s[6:7], vcc
	s_cbranch_execz .LBB8_1027
; %bb.1019:
	s_mov_b32 s22, 0
	s_mov_b64 s[10:11], 0
                                        ; implicit-def: $sgpr12_sgpr13
                                        ; implicit-def: $sgpr14_sgpr15
	s_branch .LBB8_1021
.LBB8_1020:                             ;   in Loop: Header=BB8_1021 Depth=1
	s_or_b64 exec, exec, s[20:21]
	s_and_b64 s[16:17], exec, s[18:19]
	s_or_b64 s[10:11], s[16:17], s[10:11]
	s_andn2_b64 s[12:13], s[12:13], exec
	s_and_b64 s[16:17], s[14:15], exec
	s_or_b64 s[12:13], s[12:13], s[16:17]
	s_andn2_b64 exec, exec, s[10:11]
	s_cbranch_execz .LBB8_1025
.LBB8_1021:                             ; =>This Inner Loop Header: Depth=1
	s_add_i32 s22, s22, 1
	s_cmpk_lg_i32 s22, 0x2710
	s_cselect_b64 s[16:17], -1, 0
	s_and_b64 vcc, exec, s[16:17]
                                        ; implicit-def: $sgpr20_sgpr21
	s_cbranch_vccnz .LBB8_1023
; %bb.1022:                             ;   in Loop: Header=BB8_1021 Depth=1
	s_trap 2
	ds_read_b64 v[2:3], v0
	s_andn2_b64 s[16:17], s[16:17], exec
	s_mov_b32 s22, 0
	s_mov_b64 s[20:21], -1
	s_waitcnt vmcnt(0) lgkmcnt(0)
	flat_load_dword v2, v[2:3] sc0 sc1
	s_waitcnt vmcnt(0) lgkmcnt(0)
	buffer_inv sc0 sc1
	v_cmp_eq_u32_e32 vcc, 0, v2
	s_and_b64 s[18:19], vcc, exec
	s_or_b64 s[16:17], s[16:17], s[18:19]
.LBB8_1023:                             ;   in Loop: Header=BB8_1021 Depth=1
	s_andn2_b64 s[14:15], s[14:15], exec
	s_and_b64 s[20:21], s[20:21], exec
	s_mov_b64 s[18:19], -1
	s_or_b64 s[14:15], s[14:15], s[20:21]
	s_and_saveexec_b64 s[20:21], s[16:17]
	s_cbranch_execz .LBB8_1020
; %bb.1024:                             ;   in Loop: Header=BB8_1021 Depth=1
	s_sleep 1
	s_trap 2
	ds_read_b64 v[2:3], v0
	s_andn2_b64 s[14:15], s[14:15], exec
	s_waitcnt lgkmcnt(0)
	v_cmp_ge_u64_e32 vcc, v[2:3], v[0:1]
	s_orn2_b64 s[18:19], vcc, exec
	s_branch .LBB8_1020
.LBB8_1025:
	s_or_b64 exec, exec, s[10:11]
	s_and_saveexec_b64 s[10:11], s[12:13]
	s_xor_b64 s[10:11], exec, s[10:11]
	s_cbranch_execz .LBB8_1027
; %bb.1026:
	v_mov_b32_e32 v0, 1
	ds_write_b32 v0, v0
	s_trap 2
.LBB8_1027:
	s_or_b64 exec, exec, s[6:7]
	;;#ASMSTART
	s_wakeup
	;;#ASMEND
.LBB8_1028:
	s_or_b64 exec, exec, s[4:5]
.LBB8_1029:
	s_andn2_saveexec_b64 s[2:3], s[2:3]
	s_cbranch_execz .LBB8_1031
; %bb.1030:
	s_waitcnt lgkmcnt(0)
	s_barrier
.LBB8_1031:
	s_or_b64 exec, exec, s[0:1]
.LBB8_1032:
	s_andn2_saveexec_b64 s[22:23], s[40:41]
	s_cbranch_execz .LBB8_1034
; %bb.1033:
	s_getpc_b64 s[0:1]
	s_add_u32 s0, s0, __PRETTY_FUNCTION__._ZN10PrimitivesIa7FuncSumIaE12FanSymmetricILi1EELi0E11ProtoSimpleILi1ELi1ELi0ELi2ELi0ELi0EELi0ELb0ELi0ELi0ELi0EEC2EiiPKiS8_PKvPvmhhhP15ncclDevWorkCollP14ncclDevWorkP2pii@rel32@lo+4
	s_addc_u32 s1, s1, __PRETTY_FUNCTION__._ZN10PrimitivesIa7FuncSumIaE12FanSymmetricILi1EELi0E11ProtoSimpleILi1ELi1ELi0ELi2ELi0ELi0EELi0ELb0ELi0ELi0ELi0EEC2EiiPKiS8_PKvPvmhhhP15ncclDevWorkCollP14ncclDevWorkP2pii@rel32@hi+12
	v_mov_b32_e32 v0, s0
	v_mov_b32_e32 v1, s1
	s_getpc_b64 s[2:3]
	s_add_u32 s2, s2, __assert_fail@rel32@lo+4
	s_addc_u32 s3, s3, __assert_fail@rel32@hi+12
	s_swappc_b64 s[30:31], s[2:3]
	; divergent unreachable
.LBB8_1034:
	s_or_b64 exec, exec, s[22:23]
.LBB8_1035:
	s_or_b64 exec, exec, s[38:39]
	scratch_load_dword v62, off, s33        ; 4-byte Folded Reload
	scratch_load_dword v61, off, s33 offset:4 ; 4-byte Folded Reload
	scratch_load_dword v60, off, s33 offset:8 ; 4-byte Folded Reload
	;; [unrolled: 1-line block ×10, first 2 shown]
	v_readlane_b32 s30, v63, 51
	v_readlane_b32 s31, v63, 52
	;; [unrolled: 1-line block ×53, first 2 shown]
	v_accvgpr_read_b32 v43, a31             ;  Reload Reuse
	v_accvgpr_read_b32 v42, a30             ;  Reload Reuse
	s_waitcnt lgkmcnt(0)
	v_accvgpr_read_b32 v41, a29             ;  Reload Reuse
	v_accvgpr_read_b32 v40, a28             ;  Reload Reuse
	v_readlane_b32 s0, v63, 53
	s_or_saveexec_b64 s[2:3], -1
	scratch_load_dword v63, off, s33 offset:44 ; 4-byte Folded Reload
	s_mov_b64 exec, s[2:3]
	s_addk_i32 s32, 0xffc0
	s_mov_b32 s33, s0
	s_waitcnt vmcnt(0)
	s_setpc_b64 s[30:31]
.Lfunc_end8:
	.size	_ZN12_GLOBAL__N_17runRingIa7FuncSumIaE11ProtoSimpleILi1ELi1ELi0ELi2ELi0ELi0EELi0ELi2ELi0EEEviiP15ncclDevWorkColl, .Lfunc_end8-_ZN12_GLOBAL__N_17runRingIa7FuncSumIaE11ProtoSimpleILi1ELi1ELi0ELi2ELi0ELi0EELi0ELi2ELi0EEEviiP15ncclDevWorkColl
                                        ; -- End function
	.section	.AMDGPU.csdata,"",@progbits
; Function info:
; codeLenInByte = 32420
; NumSgprs: 91
; NumVgprs: 64
; NumAgprs: 32
; TotalNumVgprs: 96
; ScratchSize: 128
; MemoryBound: 1
	.text
	.p2align	2                               ; -- Begin function _Z46ncclDevFunc_Broadcast_RING_SIMPLE_Sum_i8_0_0_2v
	.type	_Z46ncclDevFunc_Broadcast_RING_SIMPLE_Sum_i8_0_0_2v,@function
_Z46ncclDevFunc_Broadcast_RING_SIMPLE_Sum_i8_0_0_2v: ; @_Z46ncclDevFunc_Broadcast_RING_SIMPLE_Sum_i8_0_0_2v
; %bb.0:
	s_waitcnt vmcnt(0) expcnt(0) lgkmcnt(0)
	s_mov_b32 s0, s33
	s_mov_b32 s33, s32
	s_or_saveexec_b64 s[2:3], -1
	scratch_store_dword off, v43, s33 offset:16 ; 4-byte Folded Spill
	s_mov_b64 exec, s[2:3]
	v_writelane_b32 v43, s0, 61
	s_add_i32 s32, s32, 32
	scratch_store_dword off, v40, s33 offset:12 ; 4-byte Folded Spill
	scratch_store_dword off, v41, s33 offset:8 ; 4-byte Folded Spill
	;; [unrolled: 1-line block ×3, first 2 shown]
	scratch_store_dword off, v63, s33       ; 4-byte Folded Spill
	v_writelane_b32 v43, s34, 0
	v_writelane_b32 v43, s35, 1
	v_writelane_b32 v43, s36, 2
	v_writelane_b32 v43, s37, 3
	v_writelane_b32 v43, s38, 4
	v_writelane_b32 v43, s39, 5
	v_writelane_b32 v43, s40, 6
	v_writelane_b32 v43, s41, 7
	v_writelane_b32 v43, s42, 8
	v_writelane_b32 v43, s43, 9
	v_writelane_b32 v43, s44, 10
	v_writelane_b32 v43, s45, 11
	v_writelane_b32 v43, s46, 12
	v_writelane_b32 v43, s47, 13
	v_writelane_b32 v43, s48, 14
	v_writelane_b32 v43, s49, 15
	v_writelane_b32 v43, s50, 16
	v_writelane_b32 v43, s51, 17
	v_writelane_b32 v43, s52, 18
	v_writelane_b32 v43, s53, 19
	v_writelane_b32 v43, s54, 20
	v_writelane_b32 v43, s55, 21
	v_writelane_b32 v43, s56, 22
	v_writelane_b32 v43, s57, 23
	v_writelane_b32 v43, s58, 24
	v_writelane_b32 v43, s59, 25
	v_writelane_b32 v43, s60, 26
	v_writelane_b32 v43, s61, 27
	v_writelane_b32 v43, s62, 28
	v_writelane_b32 v43, s63, 29
	v_writelane_b32 v43, s64, 30
	v_writelane_b32 v43, s65, 31
	v_writelane_b32 v43, s66, 32
	v_writelane_b32 v43, s67, 33
	v_writelane_b32 v43, s68, 34
	v_writelane_b32 v43, s69, 35
	v_writelane_b32 v43, s70, 36
	v_writelane_b32 v43, s71, 37
	v_writelane_b32 v43, s72, 38
	v_writelane_b32 v43, s73, 39
	v_writelane_b32 v43, s74, 40
	v_writelane_b32 v43, s75, 41
	v_writelane_b32 v43, s76, 42
	v_writelane_b32 v43, s77, 43
	v_writelane_b32 v43, s78, 44
	v_writelane_b32 v43, s79, 45
	v_writelane_b32 v43, s80, 46
	v_writelane_b32 v43, s81, 47
	v_writelane_b32 v43, s82, 48
	v_writelane_b32 v43, s83, 49
	v_writelane_b32 v43, s84, 50
	v_writelane_b32 v43, s85, 51
	v_writelane_b32 v43, s86, 52
	v_writelane_b32 v43, s87, 53
	v_writelane_b32 v43, s88, 54
	v_writelane_b32 v43, s89, 55
	v_writelane_b32 v43, s90, 56
	v_writelane_b32 v43, s91, 57
	v_writelane_b32 v43, s92, 58
	v_writelane_b32 v43, s30, 59
	s_nop 1
	v_writelane_b32 v43, s31, 60
	s_trap 2
	ds_read_b32 v0, v0
	v_mov_b32_e32 v40, v31
	s_mov_b32 s85, s12
	s_mov_b64 s[86:87], s[8:9]
	s_waitcnt lgkmcnt(0)
	v_cmp_gt_i32_e32 vcc, 1, v0
	s_cbranch_vccnz .LBB9_8
; %bb.1:
	s_mov_b32 s92, 0
	v_and_b32_e32 v41, 0x3ff, v40
	s_mov_b64 s[88:89], src_shared_base
	v_mov_b32_e32 v42, 6
	s_branch .LBB9_3
.LBB9_2:                                ;   in Loop: Header=BB9_3 Depth=1
	s_or_b64 exec, exec, s[90:91]
	s_trap 2
	ds_read_b32 v0, v0
	s_add_i32 s92, s92, 1
	s_waitcnt lgkmcnt(0)
	v_cmp_lt_i32_e32 vcc, s92, v0
	s_cbranch_vccz .LBB9_8
.LBB9_3:                                ; =>This Inner Loop Header: Depth=1
	s_trap 2
	ds_read_b32 v0, v0
	s_cmp_eq_u32 s92, 0
	s_cbranch_scc1 .LBB9_6
; %bb.4:                                ;   in Loop: Header=BB9_3 Depth=1
	s_trap 2
	s_waitcnt lgkmcnt(0)
	ds_read_b32 v1, v0
	s_waitcnt lgkmcnt(0)
	v_xor_b32_e32 v1, v1, v0
	v_and_b32_e32 v1, 0xff0000, v1
	v_cmp_eq_u32_e32 vcc, 0, v1
	s_cbranch_vccnz .LBB9_6
; %bb.5:                                ;   in Loop: Header=BB9_3 Depth=1
	s_barrier
	ds_read_b32 v0, v0
.LBB9_6:                                ;   in Loop: Header=BB9_3 Depth=1
	s_waitcnt lgkmcnt(0)
	v_lshlrev_b32_sdwa v1, v42, v0 dst_sel:DWORD dst_unused:UNUSED_PAD src0_sel:DWORD src1_sel:BYTE_2
	v_cmp_lt_u32_e32 vcc, v41, v1
	s_and_saveexec_b64 s[90:91], vcc
	s_cbranch_execz .LBB9_2
; %bb.7:                                ;   in Loop: Header=BB9_3 Depth=1
	s_mov_b64 s[8:9], s[86:87]
	s_mov_b32 s12, s85
	v_mov_b32_e32 v31, v40
	v_mov_b32_e32 v0, v41
	;; [unrolled: 1-line block ×3, first 2 shown]
	s_getpc_b64 s[0:1]
	s_add_u32 s0, s0, _ZN12_GLOBAL__N_17runRingIa7FuncSumIaE11ProtoSimpleILi1ELi1ELi0ELi2ELi0ELi0EELi0ELi2ELi0EEEviiP15ncclDevWorkColl@rel32@lo+4
	s_addc_u32 s1, s1, _ZN12_GLOBAL__N_17runRingIa7FuncSumIaE11ProtoSimpleILi1ELi1ELi0ELi2ELi0ELi0EELi0ELi2ELi0EEEviiP15ncclDevWorkColl@rel32@hi+12
	s_swappc_b64 s[30:31], s[0:1]
	s_branch .LBB9_2
.LBB9_8:
	scratch_load_dword v63, off, s33        ; 4-byte Folded Reload
	scratch_load_dword v42, off, s33 offset:4 ; 4-byte Folded Reload
	scratch_load_dword v41, off, s33 offset:8 ; 4-byte Folded Reload
	;; [unrolled: 1-line block ×3, first 2 shown]
	v_readlane_b32 s30, v43, 59
	v_readlane_b32 s31, v43, 60
	;; [unrolled: 1-line block ×62, first 2 shown]
	s_or_saveexec_b64 s[2:3], -1
	scratch_load_dword v43, off, s33 offset:16 ; 4-byte Folded Reload
	s_mov_b64 exec, s[2:3]
	s_addk_i32 s32, 0xffe0
	s_mov_b32 s33, s0
	s_waitcnt vmcnt(0)
	s_setpc_b64 s[30:31]
.Lfunc_end9:
	.size	_Z46ncclDevFunc_Broadcast_RING_SIMPLE_Sum_i8_0_0_2v, .Lfunc_end9-_Z46ncclDevFunc_Broadcast_RING_SIMPLE_Sum_i8_0_0_2v
                                        ; -- End function
	.section	.AMDGPU.csdata,"",@progbits
; Function info:
; codeLenInByte = 1360
; NumSgprs: 99
; NumVgprs: 64
; NumAgprs: 32
; TotalNumVgprs: 96
; ScratchSize: 160
; MemoryBound: 0
	.text
	.p2align	2                               ; -- Begin function _ZN12_GLOBAL__N_17runRingIa7FuncSumIaE7ProtoLLLi0ELi4ELi0EEEviiP15ncclDevWorkColl
	.type	_ZN12_GLOBAL__N_17runRingIa7FuncSumIaE7ProtoLLLi0ELi4ELi0EEEviiP15ncclDevWorkColl,@function
_ZN12_GLOBAL__N_17runRingIa7FuncSumIaE7ProtoLLLi0ELi4ELi0EEEviiP15ncclDevWorkColl: ; @_ZN12_GLOBAL__N_17runRingIa7FuncSumIaE7ProtoLLLi0ELi4ELi0EEEviiP15ncclDevWorkColl
; %bb.0:
	s_waitcnt vmcnt(0) expcnt(0) lgkmcnt(0)
	s_or_saveexec_b64 s[0:1], -1
	scratch_store_dword off, v63, s32 offset:32 ; 4-byte Folded Spill
	s_mov_b64 exec, s[0:1]
	v_accvgpr_write_b32 a5, v40             ;  Reload Reuse
	v_accvgpr_write_b32 a26, v41            ;  Reload Reuse
	v_accvgpr_write_b32 a27, v42            ;  Reload Reuse
	;; [unrolled: 1-line block ×6, first 2 shown]
	scratch_store_dword off, v47, s32 offset:28 ; 4-byte Folded Spill
	scratch_store_dword off, v56, s32 offset:24 ; 4-byte Folded Spill
	;; [unrolled: 1-line block ×7, first 2 shown]
	scratch_store_dword off, v62, s32       ; 4-byte Folded Spill
	v_writelane_b32 v63, s34, 0
	v_writelane_b32 v63, s35, 1
	v_writelane_b32 v63, s36, 2
	v_writelane_b32 v63, s37, 3
	v_writelane_b32 v63, s38, 4
	v_writelane_b32 v63, s39, 5
	v_writelane_b32 v63, s40, 6
	v_writelane_b32 v63, s41, 7
	v_writelane_b32 v63, s42, 8
	v_writelane_b32 v63, s43, 9
	v_writelane_b32 v63, s44, 10
	v_writelane_b32 v63, s45, 11
	v_writelane_b32 v63, s46, 12
	v_writelane_b32 v63, s47, 13
	v_writelane_b32 v63, s48, 14
	v_writelane_b32 v63, s49, 15
	v_writelane_b32 v63, s50, 16
	v_writelane_b32 v63, s51, 17
	v_writelane_b32 v63, s52, 18
	v_writelane_b32 v63, s53, 19
	v_writelane_b32 v63, s54, 20
	v_writelane_b32 v63, s55, 21
	v_writelane_b32 v63, s56, 22
	v_writelane_b32 v63, s57, 23
	v_writelane_b32 v63, s30, 24
	s_nop 1
	v_writelane_b32 v63, s31, 25
	s_trap 2
	ds_read_b64 v[4:5], v0
	flat_load_ushort v9, v[2:3] offset:8
	flat_load_dwordx2 v[16:17], v[2:3]
	ds_read_b32 v6, v0
	v_mov_b32_e32 v14, v0
                                        ; implicit-def: $vgpr50_vgpr51
                                        ; implicit-def: $vgpr34_vgpr35
	s_waitcnt lgkmcnt(0)
	flat_load_dwordx2 v[36:37], v[4:5]
                                        ; implicit-def: $vgpr4_vgpr5
	s_waitcnt vmcnt(0)
	v_mov_b32_e32 v8, v17
	v_cmp_ne_u32_sdwa s[0:1], v16, v6 src0_sel:BYTE_0 src1_sel:DWORD
	s_and_saveexec_b64 s[2:3], s[0:1]
	s_xor_b64 s[0:1], exec, s[2:3]
	s_cbranch_execz .LBB10_6
; %bb.1:
	v_not_b32_sdwa v0, v16 dst_sel:DWORD dst_unused:UNUSED_PAD src0_sel:BYTE_0
	v_cmp_ne_u32_sdwa s[2:3], v16, v6 src0_sel:BYTE_1 src1_sel:DWORD
                                        ; implicit-def: $vgpr50_vgpr51
                                        ; implicit-def: $vgpr4_vgpr5
                                        ; implicit-def: $vgpr34_vgpr35
	s_and_saveexec_b64 s[4:5], s[2:3]
	s_xor_b64 s[2:3], exec, s[4:5]
	s_cbranch_execz .LBB10_3
; %bb.2:
	flat_load_dwordx4 v[10:13], v[2:3] offset:72
	flat_load_dwordx2 v[4:5], v[2:3] offset:96
	v_add_u32_e32 v0, v6, v0
	v_ashrrev_i32_e32 v6, 31, v0
	s_waitcnt vmcnt(0) lgkmcnt(0)
	v_mul_lo_u32 v6, v12, v6
	v_mad_u64_u32 v[34:35], s[4:5], v12, v0, v[10:11]
	v_mul_lo_u32 v0, v13, v0
	v_lshrrev_b64 v[50:51], 21, v[4:5]
	v_add3_u32 v35, v0, v35, v6
	v_mov_b64_e32 v[4:5], v[12:13]
                                        ; implicit-def: $vgpr0
.LBB10_3:
	s_andn2_saveexec_b64 s[2:3], s[2:3]
	s_cbranch_execz .LBB10_5
; %bb.4:
	flat_load_dwordx4 v[10:13], v[2:3] offset:72
	flat_load_dwordx4 v[4:7], v[2:3] offset:88
	v_add_u32_sdwa v0, v16, v0 dst_sel:DWORD dst_unused:UNUSED_PAD src0_sel:BYTE_1 src1_sel:DWORD
	s_waitcnt vmcnt(0) lgkmcnt(0)
	v_ashrrev_i32_e32 v6, 31, v0
	v_mul_lo_u32 v6, v12, v6
	v_mad_u64_u32 v[34:35], s[4:5], v12, v0, v[10:11]
	v_mul_lo_u32 v0, v13, v0
	v_add3_u32 v35, v0, v35, v6
	v_lshrrev_b32_e32 v50, 10, v7
.LBB10_5:
	s_or_b64 exec, exec, s[2:3]
.LBB10_6:
	s_andn2_saveexec_b64 s[0:1], s[0:1]
	s_cbranch_execz .LBB10_8
; %bb.7:
	flat_load_dwordx2 v[4:5], v[2:3] offset:72
	flat_load_dwordx2 v[50:51], v[2:3] offset:96
	v_mov_b64_e32 v[34:35], 0
.LBB10_8:
	s_or_b64 exec, exec, s[0:1]
	flat_load_dwordx4 v[10:13], v[2:3] offset:16
	s_brev_b32 s0, 34
	v_and_b32_e32 v0, 0x44000000, v16
	v_cmp_eq_u32_e64 s[16:17], s0, v0
	v_mov_b32_e32 v0, v14
	v_bfe_u32 v3, v8, 1, 30
	v_cndmask_b32_e64 v2, v1, 64, s[16:17]
	v_cmp_ge_i32_e32 vcc, v0, v2
	s_and_saveexec_b64 s[0:1], vcc
	s_xor_b64 s[2:3], exec, s[0:1]
	s_cbranch_execz .LBB10_40
; %bb.9:
	s_waitcnt vmcnt(0) lgkmcnt(0)
	v_cmp_ne_u64_e32 vcc, v[12:13], v[10:11]
	v_cmp_eq_u32_e64 s[0:1], v36, v3
	s_and_b64 s[0:1], vcc, s[0:1]
	s_and_saveexec_b64 s[4:5], s[0:1]
	s_cbranch_execz .LBB10_39
; %bb.10:
	v_sub_u32_e32 v27, v14, v2
	v_ashrrev_i32_e32 v0, 31, v27
	v_lshrrev_b32_e32 v0, 26, v0
	v_add_u32_e32 v0, v27, v0
	v_and_b32_e32 v3, 0xffffffc0, v0
	v_sub_u32_e32 v22, v27, v3
	v_lshl_add_u64 v[8:9], v[12:13], 0, v[34:35]
	v_lshl_add_u64 v[16:17], v[10:11], 0, v[34:35]
	v_cmp_gt_i32_e32 vcc, 1, v22
	v_mov_b32_e32 v3, 0
	s_and_saveexec_b64 s[0:1], vcc
; %bb.11:
	v_or_b32_e32 v3, v8, v16
	v_and_b32_e32 v3, 15, v3
	v_cmp_ne_u32_e32 vcc, 0, v3
	s_nop 1
	v_cndmask_b32_e64 v3, 0, 1, vcc
; %bb.12:
	s_or_b64 exec, exec, s[0:1]
	v_ashrrev_i32_e32 v28, 6, v0
	v_sub_u32_e32 v26, v1, v2
	;;#ASMSTART
	;;#ASMEND
	s_nop 0
	v_cmp_ne_u32_e32 vcc, 0, v3
	s_cbranch_vccz .LBB10_14
; %bb.13:
	s_mov_b64 s[6:7], -1
	v_mov_b64_e32 v[0:1], 0
	s_and_b64 exec, exec, s[6:7]
	s_cbranch_execnz .LBB10_31
	s_branch .LBB10_39
.LBB10_14:
	v_ashrrev_i32_e32 v0, 31, v5
	v_lshrrev_b32_e32 v0, 19, v0
	v_mov_b32_e32 v1, 0
	v_lshl_add_u64 v[0:1], v[4:5], 0, v[0:1]
	v_ashrrev_i64 v[0:1], 13, v[0:1]
	v_ashrrev_i32_e32 v2, 31, v28
	v_sub_co_u32_e32 v6, vcc, v0, v28
	s_mov_b64 s[10:11], 0
	s_nop 0
	v_subb_co_u32_e32 v7, vcc, v1, v2, vcc
	v_cmp_lt_i64_e32 vcc, 0, v[6:7]
	s_and_saveexec_b64 s[6:7], vcc
	s_cbranch_execz .LBB10_18
; %bb.15:
	v_ashrrev_i32_e32 v14, 31, v26
	v_lshrrev_b32_e32 v14, 26, v14
	v_add_u32_e32 v14, v26, v14
	v_ashrrev_i32_e32 v18, 6, v14
	v_mov_b32_e32 v14, 0xffffe000
	v_lshlrev_b32_e32 v2, 4, v22
	v_lshl_add_u32 v14, v18, 13, v14
	v_accvgpr_write_b32 a0, v34
	v_lshl_add_u32 v2, v28, 13, v2
	v_ashrrev_i32_e32 v15, 31, v14
	s_mov_b64 s[0:1], 0x2000
	v_accvgpr_write_b32 a1, v35
	v_ashrrev_i32_e32 v3, 31, v2
	v_ashrrev_i32_e32 v19, 31, v18
	v_lshl_add_u64 v[20:21], v[14:15], 0, s[0:1]
.LBB10_16:                              ; =>This Inner Loop Header: Depth=1
	v_lshl_add_u64 v[14:15], v[2:3], 0, v[8:9]
	global_load_dwordx4 v[28:31], v[14:15], off nt
	global_load_dwordx4 v[32:35], v[14:15], off offset:1024 nt
	global_load_dwordx4 v[36:39], v[14:15], off offset:2048 nt
	;; [unrolled: 1-line block ×3, first 2 shown]
	v_add_co_u32_e32 v14, vcc, 0x1000, v14
	v_lshl_add_u64 v[8:9], v[8:9], 0, v[20:21]
	s_nop 0
	v_addc_co_u32_e32 v15, vcc, 0, v15, vcc
	global_load_dwordx4 v[52:55], v[14:15], off nt
	global_load_dwordx4 v[40:43], v[14:15], off offset:1024 nt
	global_load_dwordx4 v[44:47], v[14:15], off offset:2048 nt
	;; [unrolled: 1-line block ×3, first 2 shown]
	v_sub_co_u32_e32 v6, vcc, v6, v18
	v_lshl_add_u64 v[14:15], v[2:3], 0, v[16:17]
	s_nop 0
	v_subb_co_u32_e32 v7, vcc, v7, v19, vcc
	v_cmp_gt_i64_e64 s[0:1], 1, v[6:7]
	v_lshl_add_u64 v[16:17], v[16:17], 0, v[20:21]
	v_add_co_u32_e32 v24, vcc, 0x1000, v14
	s_or_b64 s[10:11], s[0:1], s[10:11]
	s_nop 0
	v_addc_co_u32_e32 v25, vcc, 0, v15, vcc
	s_waitcnt vmcnt(7)
	global_store_dwordx4 v[14:15], v[28:31], off nt
	s_waitcnt vmcnt(7)
	global_store_dwordx4 v[14:15], v[32:35], off offset:1024 nt
	s_waitcnt vmcnt(7)
	global_store_dwordx4 v[14:15], v[36:39], off offset:2048 nt
	;; [unrolled: 2-line block ×3, first 2 shown]
	s_waitcnt vmcnt(7)
	global_store_dwordx4 v[24:25], v[52:55], off nt
	s_waitcnt vmcnt(7)
	global_store_dwordx4 v[24:25], v[40:43], off offset:1024 nt
	s_waitcnt vmcnt(7)
	global_store_dwordx4 v[24:25], v[44:47], off offset:2048 nt
	;; [unrolled: 2-line block ×3, first 2 shown]
	s_andn2_b64 exec, exec, s[10:11]
	s_cbranch_execnz .LBB10_16
; %bb.17:
	s_or_b64 exec, exec, s[10:11]
	v_accvgpr_read_b32 v35, a1
	v_accvgpr_read_b32 v34, a0
.LBB10_18:
	s_or_b64 exec, exec, s[6:7]
	v_lshlrev_b64 v[16:17], 13, v[0:1]
	v_cmp_ne_u64_e32 vcc, v[4:5], v[16:17]
	s_mov_b64 s[6:7], 0
	v_mov_b64_e32 v[0:1], 0
                                        ; implicit-def: $vgpr27
                                        ; implicit-def: $vgpr28
	s_and_saveexec_b64 s[0:1], vcc
	s_cbranch_execz .LBB10_30
; %bb.19:
	v_sub_co_u32_e32 v0, vcc, v4, v16
	v_mov_b32_e32 v21, 0
	s_nop 0
	v_subb_co_u32_e32 v1, vcc, v5, v17, vcc
	v_ashrrev_i32_e32 v2, 31, v1
	v_lshrrev_b32_e32 v20, 22, v2
	v_lshl_add_u64 v[2:3], v[0:1], 0, v[20:21]
	v_ashrrev_i64 v[18:19], 10, v[2:3]
	v_and_b32_e32 v2, 0xfffffc00, v2
	v_lshl_add_u64 v[8:9], v[2:3], 0, v[16:17]
	v_sub_co_u32_e32 v2, vcc, v0, v2
	s_nop 1
	v_subb_co_u32_e32 v3, vcc, v1, v3, vcc
	v_cmp_lt_i64_e32 vcc, 15, v[2:3]
	s_and_saveexec_b64 s[6:7], vcc
; %bb.20:
	v_and_b32_e32 v20, 15, v4
	v_sub_co_u32_e32 v2, vcc, v2, v20
	v_lshl_add_u64 v[18:19], v[18:19], 0, 1
	s_nop 0
	v_subbrev_co_u32_e32 v3, vcc, 0, v3, vcc
	v_lshl_add_u64 v[8:9], v[2:3], 0, v[8:9]
	v_mov_b64_e32 v[2:3], v[20:21]
; %bb.21:
	s_or_b64 exec, exec, s[6:7]
	v_lshlrev_b32_e32 v4, 6, v6
	v_sub_u32_e32 v4, v22, v4
	v_ashrrev_i32_e32 v5, 31, v4
	v_lshrrev_b32_e32 v5, 26, v5
	v_add_u32_e32 v5, v4, v5
	v_ashrrev_i32_e32 v6, 6, v5
	v_and_b32_e32 v5, 0xffffffc0, v5
	v_sub_u32_e32 v24, v4, v5
	v_lshlrev_b32_e32 v4, 4, v24
	v_lshl_add_u32 v22, v6, 10, v4
	v_ashrrev_i32_e32 v23, 31, v22
	v_sub_co_u32_e32 v0, vcc, v0, v22
	v_ashrrev_i32_e32 v5, 31, v6
	s_nop 0
	v_subb_co_u32_e32 v1, vcc, v1, v23, vcc
	v_sub_co_u32_e32 v4, vcc, v18, v6
	s_nop 1
	v_subb_co_u32_e32 v5, vcc, v19, v5, vcc
	v_cmp_lt_i64_e32 vcc, 15, v[0:1]
	s_and_saveexec_b64 s[6:7], vcc
	s_cbranch_execz .LBB10_25
; %bb.22:
	v_ashrrev_i32_e32 v6, 31, v26
	v_lshrrev_b32_e32 v6, 26, v6
	v_add_u32_e32 v6, v26, v6
	v_ashrrev_i32_e32 v6, 6, v6
	v_lshlrev_b32_e32 v18, 10, v6
	v_add_u32_e32 v14, 0xfffffc00, v18
	v_ashrrev_i32_e32 v15, 31, v14
	s_mov_b64 s[10:11], 0x400
	v_lshl_add_u64 v[20:21], v[14:15], 0, s[10:11]
	v_lshl_add_u64 v[14:15], v[34:35], 0, v[16:17]
	v_ashrrev_i32_e32 v7, 31, v18
	v_ashrrev_i32_e32 v19, 31, v6
	v_lshl_add_u64 v[16:17], v[14:15], 0, v[22:23]
	s_mov_b64 s[10:11], 0
.LBB10_23:                              ; =>This Inner Loop Header: Depth=1
	v_lshl_add_u64 v[14:15], v[12:13], 0, v[16:17]
	global_load_dwordx4 v[28:31], v[14:15], off nt
	v_sub_co_u32_e32 v0, vcc, v0, v18
	v_lshl_add_u64 v[14:15], v[10:11], 0, v[16:17]
	s_nop 0
	v_subb_co_u32_e32 v1, vcc, v1, v7, vcc
	v_sub_co_u32_e32 v4, vcc, v4, v6
	v_lshl_add_u64 v[16:17], v[16:17], 0, v[20:21]
	s_nop 0
	v_subb_co_u32_e32 v5, vcc, v5, v19, vcc
	v_cmp_gt_i64_e32 vcc, 16, v[0:1]
	s_or_b64 s[10:11], vcc, s[10:11]
	s_waitcnt vmcnt(0)
	global_store_dwordx4 v[14:15], v[28:31], off nt
	s_andn2_b64 exec, exec, s[10:11]
	s_cbranch_execnz .LBB10_23
; %bb.24:
	s_or_b64 exec, exec, s[10:11]
.LBB10_25:
	s_or_b64 exec, exec, s[6:7]
	s_mov_b64 s[6:7], 0
	v_cmp_lt_i64_e32 vcc, 0, v[4:5]
	s_and_saveexec_b64 s[10:11], vcc
; %bb.26:
	v_ashrrev_i32_e32 v0, 31, v26
	v_lshrrev_b32_e32 v0, 26, v0
	v_add_u32_e32 v0, v26, v0
	v_ashrrev_i32_e32 v0, 6, v0
	v_sub_co_u32_e32 v4, vcc, v4, v0
; %bb.27:
	s_or_b64 exec, exec, s[10:11]
	v_cmp_ne_u64_e32 vcc, 0, v[2:3]
	v_mov_b64_e32 v[0:1], 0
                                        ; implicit-def: $vgpr27
                                        ; implicit-def: $vgpr28
	s_and_saveexec_b64 s[10:11], vcc
; %bb.28:
	v_lshlrev_b32_e32 v0, 6, v4
	v_sub_u32_e32 v27, v24, v0
	v_ashrrev_i32_e32 v0, 31, v27
	v_lshrrev_b32_e32 v0, 26, v0
	v_add_u32_e32 v0, v27, v0
	s_mov_b64 s[6:7], exec
	v_ashrrev_i32_e32 v28, 6, v0
	v_mov_b64_e32 v[0:1], v[8:9]
; %bb.29:
	s_or_b64 exec, exec, s[10:11]
	s_and_b64 s[6:7], s[6:7], exec
	v_mov_b64_e32 v[4:5], v[2:3]
.LBB10_30:
	s_or_b64 exec, exec, s[0:1]
	s_and_b64 exec, exec, s[6:7]
	s_cbranch_execz .LBB10_39
.LBB10_31:
	v_ashrrev_i32_e32 v2, 31, v5
	v_lshrrev_b32_e32 v2, 21, v2
	v_mov_b32_e32 v3, 0
	v_lshl_add_u64 v[2:3], v[4:5], 0, v[2:3]
	v_ashrrev_i64 v[6:7], 11, v[2:3]
	v_ashrrev_i32_e32 v3, 31, v28
	v_sub_co_u32_e32 v2, vcc, v6, v28
	s_mov_b64 s[6:7], 0
	s_nop 0
	v_subb_co_u32_e32 v3, vcc, v7, v3, vcc
	v_cmp_lt_i64_e32 vcc, 0, v[2:3]
	s_and_saveexec_b64 s[0:1], vcc
	s_cbranch_execz .LBB10_35
; %bb.32:
	v_ashrrev_i32_e32 v14, 31, v26
	v_ashrrev_i32_e32 v8, 31, v27
	v_lshrrev_b32_e32 v14, 26, v14
	v_lshrrev_b32_e32 v8, 26, v8
	v_add_u32_e32 v14, v26, v14
	v_add_u32_e32 v8, v27, v8
	v_ashrrev_i32_e32 v16, 6, v14
	v_mov_b32_e32 v14, 0xfffff800
	v_and_b32_e32 v8, 0xffffffc0, v8
	v_lshl_add_u32 v14, v16, 11, v14
	v_sub_u32_e32 v8, v27, v8
	v_ashrrev_i32_e32 v15, 31, v14
	s_mov_b64 s[10:11], 0x800
	v_lshl_add_u32 v8, v28, 11, v8
	v_lshl_add_u64 v[18:19], v[14:15], 0, s[10:11]
	v_accvgpr_write_b32 a0, v34
	v_lshl_add_u64 v[14:15], v[34:35], 0, v[0:1]
	v_ashrrev_i32_e32 v9, 31, v8
	v_ashrrev_i32_e32 v17, 31, v16
	v_accvgpr_write_b32 a1, v35
	v_lshl_add_u64 v[20:21], v[14:15], 0, v[12:13]
	v_lshl_add_u64 v[22:23], v[14:15], 0, v[10:11]
.LBB10_33:                              ; =>This Inner Loop Header: Depth=1
	v_lshl_add_u64 v[14:15], v[8:9], 0, v[20:21]
	flat_load_ubyte v29, v[14:15] nt
	flat_load_ubyte v30, v[14:15] offset:64 nt
	flat_load_ubyte v31, v[14:15] offset:128 nt
	;; [unrolled: 1-line block ×30, first 2 shown]
	s_nop 0
	flat_load_ubyte v14, v[14:15] offset:1984 nt
	v_sub_co_u32_e32 v2, vcc, v2, v16
	v_lshl_add_u64 v[24:25], v[8:9], 0, v[22:23]
	s_nop 0
	v_subb_co_u32_e32 v3, vcc, v3, v17, vcc
	v_cmp_gt_i64_e32 vcc, 1, v[2:3]
	v_lshl_add_u64 v[20:21], v[20:21], 0, v[18:19]
	v_lshl_add_u64 v[22:23], v[22:23], 0, v[18:19]
	s_or_b64 s[6:7], vcc, s[6:7]
	s_waitcnt vmcnt(0) lgkmcnt(0)
	flat_store_byte v[24:25], v29 nt
	flat_store_byte v[24:25], v30 offset:64 nt
	flat_store_byte v[24:25], v31 offset:128 nt
	;; [unrolled: 1-line block ×31, first 2 shown]
	s_andn2_b64 exec, exec, s[6:7]
	s_cbranch_execnz .LBB10_33
; %bb.34:
	s_or_b64 exec, exec, s[6:7]
	v_accvgpr_read_b32 v35, a1
	v_accvgpr_read_b32 v34, a0
.LBB10_35:
	s_or_b64 exec, exec, s[0:1]
	v_lshlrev_b64 v[6:7], 11, v[6:7]
	v_cmp_ne_u64_e32 vcc, v[4:5], v[6:7]
	s_and_b64 exec, exec, vcc
	s_cbranch_execz .LBB10_39
; %bb.36:
	v_lshlrev_b32_e32 v3, 6, v28
	v_sub_u32_e32 v3, v27, v3
	v_lshlrev_b32_e32 v2, 6, v2
	v_sub_u32_e32 v16, v3, v2
	v_ashrrev_i32_e32 v17, 31, v16
	v_lshl_add_u64 v[2:3], v[6:7], 0, v[16:17]
	v_sub_co_u32_e32 v2, vcc, v4, v2
	s_mov_b64 s[0:1], 0
	s_nop 0
	v_subb_co_u32_e32 v3, vcc, v5, v3, vcc
	v_cmp_lt_i64_e32 vcc, 0, v[2:3]
	s_and_b64 exec, exec, vcc
	s_cbranch_execz .LBB10_39
; %bb.37:
	v_ashrrev_i32_e32 v4, 31, v26
	v_lshrrev_b32_e32 v4, 26, v4
	v_add_u32_e32 v4, v26, v4
	v_and_b32_e32 v4, 0xffffffc0, v4
	v_subrev_u32_e32 v8, 64, v4
	v_lshl_add_u64 v[0:1], v[34:35], 0, v[0:1]
	v_ashrrev_i32_e32 v9, 31, v8
	v_lshl_add_u64 v[0:1], v[0:1], 0, v[6:7]
	v_lshl_add_u64 v[8:9], v[8:9], 0, 64
	v_ashrrev_i32_e32 v5, 31, v4
	v_lshl_add_u64 v[0:1], v[0:1], 0, v[16:17]
.LBB10_38:                              ; =>This Inner Loop Header: Depth=1
	v_lshl_add_u64 v[6:7], v[12:13], 0, v[0:1]
	flat_load_ubyte v14, v[6:7] nt
	v_sub_co_u32_e32 v2, vcc, v2, v4
	v_lshl_add_u64 v[6:7], v[10:11], 0, v[0:1]
	s_nop 0
	v_subb_co_u32_e32 v3, vcc, v3, v5, vcc
	v_cmp_gt_i64_e32 vcc, 1, v[2:3]
	v_lshl_add_u64 v[0:1], v[0:1], 0, v[8:9]
	s_or_b64 s[0:1], vcc, s[0:1]
	s_waitcnt vmcnt(0) lgkmcnt(0)
	flat_store_byte v[6:7], v14 nt
	s_andn2_b64 exec, exec, s[0:1]
	s_cbranch_execnz .LBB10_38
.LBB10_39:
	s_or_b64 exec, exec, s[4:5]
                                        ; implicit-def: $vgpr36_vgpr37
                                        ; implicit-def: $vgpr34_vgpr35
                                        ; implicit-def: $vgpr4_vgpr5
                                        ; implicit-def: $vgpr50_vgpr51
                                        ; implicit-def: $vgpr3
                                        ; implicit-def: $vgpr2
                                        ; implicit-def: $vgpr14
                                        ; implicit-def: $vgpr31
                                        ; implicit-def: $vgpr12_vgpr13
                                        ; implicit-def: $vgpr8_vgpr9
.LBB10_40:
	s_andn2_saveexec_b64 s[18:19], s[2:3]
	s_cbranch_execz .LBB10_348
; %bb.41:
	s_load_dword s0, s[8:9], 0x0
	v_mov_b32_e32 v1, 0
	v_lshrrev_b64 v[6:7], 31, v[8:9]
	v_ashrrev_i32_e32 v15, 31, v14
	v_and_b32_e32 v9, 3, v6
	s_waitcnt lgkmcnt(0)
	s_cmp_lt_u32 s12, s0
	s_cselect_b32 s0, 12, 18
	s_add_u32 s0, s8, s0
	s_addc_u32 s1, s9, 0
	global_load_ushort v20, v1, s[0:1]
	s_trap 2
	ds_read_b32 v0, v0
	v_lshrrev_b32_e32 v6, 26, v15
	v_add_u32_e32 v6, v14, v6
	v_and_b32_e32 v6, 0xffffffc0, v6
	v_accvgpr_write_b32 a2, v14
	v_sub_u32_e32 v8, v14, v6
	s_waitcnt lgkmcnt(0)
	v_cmp_gt_i32_e32 vcc, 0, v0
	v_accvgpr_write_b32 a3, v15
	s_mov_b32 s2, 0
	v_mov_b64_e32 v[16:17], 0
	v_cmp_eq_u32_e64 s[0:1], 0, v8
	s_cbranch_vccnz .LBB10_43
; %bb.42:
	s_trap 2
	ds_read_b64 v[6:7], v0
	v_lshlrev_b64 v[14:15], 3, v[0:1]
	v_and_b32_e32 v1, 0xffff, v9
	s_movk_i32 s2, 0xa8
	s_waitcnt lgkmcnt(0)
	v_lshl_add_u64 v[6:7], v[6:7], 0, v[14:15]
	flat_load_dwordx2 v[6:7], v[6:7]
	s_waitcnt vmcnt(0) lgkmcnt(0)
	v_mad_u64_u32 v[6:7], s[2:3], v1, s2, v[6:7]
	flat_load_dwordx2 a[10:11], v[6:7] offset:504
	flat_load_dwordx2 v[14:15], v[6:7] offset:608
	s_mov_b64 s[2:3], 0x1f8
	v_lshl_add_u64 v[6:7], v[6:7], 0, s[2:3]
	v_cndmask_b32_e64 v23, 0, v7, s[0:1]
	v_cndmask_b32_e64 v22, 0, v6, s[0:1]
	s_mov_b32 s2, 1
	s_branch .LBB10_44
.LBB10_43:
	v_mov_b64_e32 v[22:23], v[16:17]
                                        ; implicit-def: $vgpr14_vgpr15
                                        ; implicit-def: $agpr10_agpr11
.LBB10_44:
	s_trap 2
	ds_read_b32 v6, v0
	s_waitcnt lgkmcnt(0)
	v_cmp_gt_i32_e32 vcc, 0, v6
	s_cbranch_vccnz .LBB10_46
; %bb.45:
	s_trap 2
	ds_read_b64 v[16:17], v0
	v_mov_b32_e32 v7, 0
	v_lshlrev_b64 v[6:7], 3, v[6:7]
	v_and_b32_e32 v1, 0xffff, v9
	s_movk_i32 s0, 0xa8
	s_waitcnt lgkmcnt(0)
	v_lshl_add_u64 v[6:7], v[16:17], 0, v[6:7]
	flat_load_dwordx2 v[6:7], v[6:7]
	v_cmp_eq_u32_e32 vcc, 0, v8
	s_waitcnt vmcnt(0) lgkmcnt(0)
	v_mad_u64_u32 v[6:7], s[0:1], v1, s0, v[6:7]
	flat_load_dwordx2 a[12:13], v[6:7]
	flat_load_dwordx2 v[26:27], v[6:7] offset:104
	v_cndmask_b32_e32 v17, 0, v7, vcc
	v_cndmask_b32_e32 v16, 0, v6, vcc
	s_branch .LBB10_47
.LBB10_46:
                                        ; implicit-def: $vgpr26_vgpr27
                                        ; implicit-def: $agpr12_agpr13
.LBB10_47:
	v_accvgpr_read_b32 v7, a3
	v_subrev_u32_e32 v1, 64, v2
	v_accvgpr_read_b32 v6, a2
	v_cmp_le_i32_e32 vcc, v1, v6
	v_mov_b64_e32 v[6:7], 0
	v_cmp_gt_i32_e64 s[0:1], s2, v8
	v_accvgpr_write_b32 a17, v7
	s_and_b64 s[20:21], vcc, s[0:1]
	v_accvgpr_write_b32 a16, v6
                                        ; implicit-def: $vgpr44_vgpr45
	s_and_saveexec_b64 s[0:1], s[20:21]
	s_cbranch_execz .LBB10_49
; %bb.48:
	flat_load_dwordx2 a[16:17], v[22:23] offset:56
	flat_load_dwordx2 v[44:45], v[22:23] offset:104
.LBB10_49:
	s_or_b64 exec, exec, s[0:1]
	v_accvgpr_read_b32 v9, a3
	v_accvgpr_read_b32 v8, a2
	v_cmp_gt_i32_e64 s[0:1], s2, v8
	v_mov_b64_e32 v[28:29], v[6:7]
                                        ; implicit-def: $vgpr38_vgpr39
	s_and_saveexec_b64 s[2:3], s[0:1]
	s_cbranch_execz .LBB10_51
; %bb.50:
	flat_load_dwordx2 v[28:29], v[16:17] offset:56
	s_waitcnt vmcnt(0) lgkmcnt(0)
	flat_load_dwordx2 v[38:39], v[28:29] sc0 sc1
	s_waitcnt vmcnt(0)
	flat_load_dwordx4 v[6:9], v[16:17] offset:96
.LBB10_51:
	s_or_b64 exec, exec, s[2:3]
	s_waitcnt vmcnt(0)
	v_cmp_ne_u64_e32 vcc, 0, v[4:5]
	v_mov_b64_e32 v[18:19], 0
	s_and_saveexec_b64 s[22:23], vcc
	s_cbranch_execnz .LBB10_55
; %bb.52:
	s_or_b64 exec, exec, s[22:23]
	s_and_saveexec_b64 s[2:3], s[20:21]
	s_cbranch_execnz .LBB10_328
.LBB10_53:
	s_or_b64 exec, exec, s[2:3]
	s_and_saveexec_b64 s[2:3], s[0:1]
	s_cbranch_execnz .LBB10_329
.LBB10_54:
	s_or_b64 exec, exec, s[2:3]
	v_cmp_ne_u32_e32 vcc, 64, v2
	s_and_saveexec_b64 s[0:1], vcc
	s_cbranch_execnz .LBB10_330
	s_branch .LBB10_347
.LBB10_55:
	v_ashrrev_i32_e32 v1, 31, v0
	v_lshrrev_b32_e32 v1, 29, v1
	v_add_u32_e32 v0, v0, v1
	v_ashrrev_i32_e32 v62, 7, v0
	v_lshlrev_b32_e32 v0, 4, v50
	v_accvgpr_write_b32 a6, v16
	v_and_b32_e32 v48, 0x1fffff0, v0
	v_cvt_f64_u32_e32 v[0:1], 0
	v_accvgpr_write_b32 a8, v22
	v_accvgpr_write_b32 a7, v17
	v_ldexp_f64 v[0:1], v[0:1], 32
	v_cvt_f64_u32_e32 v[16:17], v48
	v_accvgpr_write_b32 a9, v23
	v_add_f64 v[22:23], v[0:1], v[16:17]
	v_cmp_ne_u32_e64 s[2:3], v36, v3
	v_cmp_ne_u32_e64 s[4:5], v37, v3
	v_and_b32_e32 v0, 63, v31
	v_ashrrev_i32_e32 v3, 31, v2
	v_cmp_eq_u32_e64 s[12:13], 0, v0
	v_lshrrev_b32_e32 v0, 26, v3
	v_add_u32_e32 v0, v2, v0
	v_accvgpr_read_b32 v17, a3
	v_ashrrev_i32_e32 v0, 6, v0
	v_accvgpr_read_b32 v16, a2
	v_ashrrev_i32_e32 v1, 31, v0
	v_lshlrev_b32_e32 v40, 3, v16
	v_accvgpr_write_b32 a21, v1
	v_ashrrev_i32_e32 v41, 31, v40
	v_accvgpr_write_b32 a20, v0
	v_lshl_add_u64 v[0:1], v[10:11], 0, v[40:41]
	v_accvgpr_write_b32 a23, v1
	v_accvgpr_write_b32 a22, v0
	s_waitcnt lgkmcnt(0)
	v_accvgpr_read_b32 v0, a16
	v_accvgpr_read_b32 v1, a17
	v_cmp_ne_u64_e64 s[14:15], 0, v[0:1]
	v_and_b32_e32 v0, 0x1fffff, v50
	v_accvgpr_write_b32 a4, v20
	v_cmp_ne_u32_sdwa s[26:27], v2, v20 src0_sel:DWORD src1_sel:WORD_0
	v_lshlrev_b32_e32 v20, 7, v0
	v_accvgpr_read_b32 v0, a12
	v_accvgpr_read_b32 v1, a13
	v_lshl_add_u64 v[56:57], v[34:35], 0, v[12:13]
	v_lshl_add_u64 v[0:1], v[16:17], 4, v[0:1]
	v_mov_b32_e32 v51, 0
	s_mov_b32 s28, 0
	v_lshlrev_b32_e32 v42, 3, v2
	v_cmp_ne_u64_e32 vcc, v[12:13], v[10:11]
	s_xor_b64 s[16:17], s[16:17], -1
	v_lshl_add_u64 v[58:59], v[56:57], 0, v[40:41]
	v_accvgpr_write_b32 a25, v1
	v_mov_b64_e32 v[36:37], 0
	v_accvgpr_write_b32 a0, v34
	v_accvgpr_write_b32 a18, v22
	v_mov_b32_e32 v49, v51
	s_mov_b64 s[24:25], 0
	v_cmp_ne_u64_e64 s[6:7], 0, v[28:29]
	v_cmp_ne_u64_e64 s[8:9], 0, v[6:7]
	v_cmp_ne_u32_e64 s[10:11], 64, v2
	v_mov_b32_e32 v30, v31
	s_mov_b32 s29, 1
	v_ashrrev_i32_e32 v43, 31, v42
	s_and_b64 s[30:31], s[16:17], vcc
	v_lshlrev_b64 v[46:47], 4, v[2:3]
	v_lshlrev_b32_e32 v52, 3, v58
	v_lshlrev_b32_e32 v53, 6, v2
	v_lshl_add_u64 v[60:61], v[10:11], 0, v[34:35]
	v_accvgpr_write_b32 a24, v0
	s_movk_i32 s56, 0x2710
	s_mov_b64 s[34:35], 0x7ffffff8
	v_mov_b32_e32 v31, 0
	v_mov_b64_e32 v[18:19], v[36:37]
	v_accvgpr_write_b32 a1, v35
	v_accvgpr_write_b32 a19, v23
	;; [unrolled: 1-line block ×3, first 2 shown]
	s_branch .LBB10_59
.LBB10_56:                              ;   in Loop: Header=BB10_59 Depth=1
	s_or_b64 exec, exec, s[16:17]
	v_lshl_add_u64 v[26:27], v[26:27], 0, 1
.LBB10_57:                              ;   in Loop: Header=BB10_59 Depth=1
	s_or_b64 exec, exec, s[38:39]
.LBB10_58:                              ;   in Loop: Header=BB10_59 Depth=1
	s_or_b64 exec, exec, s[36:37]
	v_lshl_add_u64 v[36:37], v[36:37], 0, v[48:49]
	v_cmp_ge_u64_e32 vcc, v[36:37], v[4:5]
	v_lshl_add_u64 v[56:57], v[56:57], 0, v[48:49]
	v_add_u32_e32 v52, v52, v20
	v_lshl_add_u64 v[60:61], v[60:61], 0, v[48:49]
	s_or_b64 s[24:25], vcc, s[24:25]
	v_lshl_add_u64 v[58:59], v[58:59], 0, v[48:49]
	s_andn2_b64 exec, exec, s[24:25]
	s_cbranch_execz .LBB10_327
.LBB10_59:                              ; =>This Loop Header: Depth=1
                                        ;     Child Loop BB10_68 Depth 2
                                        ;     Child Loop BB10_85 Depth 2
	;; [unrolled: 1-line block ×3, first 2 shown]
                                        ;       Child Loop BB10_130 Depth 3
                                        ;     Child Loop BB10_196 Depth 2
                                        ;     Child Loop BB10_102 Depth 2
	;; [unrolled: 1-line block ×3, first 2 shown]
                                        ;       Child Loop BB10_162 Depth 3
                                        ;     Child Loop BB10_208 Depth 2
                                        ;     Child Loop BB10_120 Depth 2
	;; [unrolled: 1-line block ×9, first 2 shown]
	v_sub_co_u32_e32 v3, vcc, v4, v36
	v_cvt_f64_u32_e32 v[10:11], v3
	s_nop 0
	v_subb_co_u32_e32 v0, vcc, v5, v37, vcc
	v_cvt_f64_u32_e32 v[0:1], v0
	v_ldexp_f64 v[0:1], v[0:1], 32
	v_add_f64 v[0:1], v[0:1], v[10:11]
	v_max_f64 v[10:11], v[22:23], v[22:23]
	v_min_f64 v[0:1], v[10:11], v[0:1]
	v_cvt_i32_f64_e32 v0, v[0:1]
	v_max_i32_e32 v3, 0, v0
	s_and_saveexec_b64 s[16:17], s[2:3]
	s_xor_b64 s[36:37], exec, s[16:17]
	s_cbranch_execz .LBB10_110
; %bb.60:                               ;   in Loop: Header=BB10_59 Depth=1
	v_lshl_add_u64 v[10:11], v[36:37], 0, v[34:35]
	s_and_saveexec_b64 s[16:17], s[4:5]
	s_xor_b64 s[38:39], exec, s[16:17]
	s_cbranch_execz .LBB10_104
; %bb.61:                               ;   in Loop: Header=BB10_59 Depth=1
	s_and_saveexec_b64 s[16:17], s[6:7]
	s_cbranch_execz .LBB10_77
; %bb.62:                               ;   in Loop: Header=BB10_59 Depth=1
	v_lshl_add_u64 v[0:1], v[8:9], 0, 1
	s_waitcnt vmcnt(0) lgkmcnt(0)
	v_lshl_add_u64 v[12:13], v[38:39], 0, 8
	v_cmp_lt_u64_e32 vcc, v[12:13], v[0:1]
	s_and_saveexec_b64 s[40:41], vcc
	s_cbranch_execz .LBB10_74
; %bb.63:                               ;   in Loop: Header=BB10_59 Depth=1
	s_sleep 1
	flat_load_dwordx2 v[38:39], v[28:29] sc1
	v_cmp_eq_u32_e32 vcc, 0, v31
	s_and_saveexec_b64 s[42:43], vcc
	s_cbranch_execz .LBB10_73
; %bb.64:                               ;   in Loop: Header=BB10_59 Depth=1
	v_cndmask_b32_e64 v9, 0, 1, vcc
	s_mov_b64 s[44:45], 0
                                        ; implicit-def: $sgpr46_sgpr47
	s_branch .LBB10_68
.LBB10_65:                              ;   in Loop: Header=BB10_68 Depth=2
	s_or_b64 exec, exec, s[54:55]
	s_orn2_b64 s[52:53], s[52:53], exec
.LBB10_66:                              ;   in Loop: Header=BB10_68 Depth=2
	s_or_b64 exec, exec, s[50:51]
	s_xor_b64 vcc, s[52:53], -1
	s_andn2_b64 s[46:47], s[46:47], exec
	s_and_b64 vcc, vcc, exec
	s_or_b64 s[46:47], s[46:47], vcc
.LBB10_67:                              ;   in Loop: Header=BB10_68 Depth=2
	s_or_b64 exec, exec, s[48:49]
	s_and_b64 vcc, exec, s[46:47]
	s_or_b64 s[44:45], vcc, s[44:45]
	s_andn2_b64 exec, exec, s[44:45]
	s_cbranch_execz .LBB10_72
.LBB10_68:                              ;   Parent Loop BB10_59 Depth=1
                                        ; =>  This Inner Loop Header: Depth=2
	s_waitcnt vmcnt(0) lgkmcnt(0)
	v_lshl_add_u64 v[12:13], v[38:39], 0, 8
	v_cmp_lt_u64_e32 vcc, v[12:13], v[0:1]
	v_mov_b32_e32 v31, 0
	s_or_b64 s[46:47], s[46:47], exec
	s_and_saveexec_b64 s[48:49], vcc
	s_cbranch_execz .LBB10_67
; %bb.69:                               ;   in Loop: Header=BB10_68 Depth=2
	s_sleep 1
	flat_load_dwordx2 v[38:39], v[28:29] sc1
	v_add_u32_e32 v9, 1, v9
	v_cmp_eq_u32_e32 vcc, s56, v9
	s_mov_b64 s[52:53], -1
	v_mov_b32_e32 v31, 0
	s_and_saveexec_b64 s[50:51], vcc
	s_cbranch_execz .LBB10_66
; %bb.70:                               ;   in Loop: Header=BB10_68 Depth=2
	s_trap 2
	ds_read_b64 v[12:13], v0
	v_mov_b32_e32 v9, 0
	v_mov_b32_e32 v31, 0
	s_waitcnt vmcnt(0) lgkmcnt(0)
	flat_load_dword v12, v[12:13] sc0 sc1
	s_waitcnt vmcnt(0) lgkmcnt(0)
	buffer_inv sc0 sc1
	v_cmp_ne_u32_e32 vcc, 0, v12
	s_and_saveexec_b64 s[54:55], vcc
	s_cbranch_execz .LBB10_65
; %bb.71:                               ;   in Loop: Header=BB10_68 Depth=2
	v_mov_b32_e32 v31, 1
	s_xor_b64 s[52:53], exec, -1
	ds_write_b32 v0, v12
	s_trap 2
	s_branch .LBB10_65
.LBB10_72:                              ;   in Loop: Header=BB10_59 Depth=1
	s_or_b64 exec, exec, s[44:45]
.LBB10_73:                              ;   in Loop: Header=BB10_59 Depth=1
	s_or_b64 exec, exec, s[42:43]
.LBB10_74:                              ;   in Loop: Header=BB10_59 Depth=1
	s_or_b64 exec, exec, s[40:41]
	s_and_saveexec_b64 s[40:41], s[8:9]
	s_cbranch_execz .LBB10_76
; %bb.75:                               ;   in Loop: Header=BB10_59 Depth=1
	v_add_u32_e32 v9, 7, v3
	v_ashrrev_i32_e32 v12, 31, v9
	v_lshrrev_b32_e32 v12, 29, v12
	v_add_u32_e32 v9, v9, v12
	v_and_b32_e32 v50, 0x7ffffff8, v8
	v_lshrrev_b32_e32 v9, 3, v9
	v_cmp_eq_u64_e32 vcc, s[34:35], v[50:51]
	v_and_b32_e32 v8, 7, v8
	s_nop 0
	v_cndmask_b32_e32 v9, v9, v62, vcc
	v_lshlrev_b32_e32 v12, 4, v9
	v_ashrrev_i32_e32 v13, 31, v12
	v_mad_u64_u32 v[8:9], vcc, v8, 24, v[6:7]
	flat_store_dwordx2 v[8:9], v[12:13] offset:8 sc0 sc1
	s_waitcnt vmcnt(0)
.LBB10_76:                              ;   in Loop: Header=BB10_59 Depth=1
	s_or_b64 exec, exec, s[40:41]
	v_mov_b64_e32 v[8:9], v[0:1]
.LBB10_77:                              ;   in Loop: Header=BB10_59 Depth=1
	s_or_b64 exec, exec, s[16:17]
	s_and_saveexec_b64 s[16:17], s[10:11]
	s_cbranch_execz .LBB10_96
; %bb.78:                               ;   in Loop: Header=BB10_59 Depth=1
	s_and_saveexec_b64 vcc, s[26:27]
	s_xor_b64 s[40:41], exec, vcc
	s_cbranch_execz .LBB10_93
; %bb.79:                               ;   in Loop: Header=BB10_59 Depth=1
	s_and_saveexec_b64 s[42:43], s[12:13]
	s_cbranch_execz .LBB10_92
; %bb.80:                               ;   in Loop: Header=BB10_59 Depth=1
	s_mov_b64 s[46:47], exec
	v_mbcnt_lo_u32_b32 v0, s46, 0
	v_mbcnt_hi_u32_b32 v0, s47, v0
	v_cmp_eq_u32_e32 vcc, 0, v0
	s_waitcnt lgkmcnt(0)
	s_and_saveexec_b64 s[44:45], vcc
	s_cbranch_execz .LBB10_82
; %bb.81:                               ;   in Loop: Header=BB10_59 Depth=1
	s_bcnt1_i32_b64 vcc_lo, s[46:47]
	v_mov_b32_e32 v50, vcc_lo
	ds_add_u64 v0, v[50:51]
	s_trap 2
.LBB10_82:                              ;   in Loop: Header=BB10_59 Depth=1
	s_or_b64 exec, exec, s[44:45]
	s_trap 2
	ds_read_b64 v[0:1], v0
	v_accvgpr_read_b32 v12, a20
	v_accvgpr_read_b32 v13, a21
	v_lshl_add_u64 v[18:19], v[18:19], 0, v[12:13]
	s_waitcnt lgkmcnt(0)
	v_cmp_lt_u64_e32 vcc, v[0:1], v[18:19]
	s_and_saveexec_b64 s[44:45], vcc
	s_cbranch_execz .LBB10_91
; %bb.83:                               ;   in Loop: Header=BB10_59 Depth=1
	s_mov_b32 s57, 0
	s_mov_b64 s[46:47], 0
                                        ; implicit-def: $sgpr48_sgpr49
                                        ; implicit-def: $sgpr50_sgpr51
	s_branch .LBB10_85
.LBB10_84:                              ;   in Loop: Header=BB10_85 Depth=2
	s_or_b64 exec, exec, s[54:55]
	s_and_b64 vcc, exec, vcc
	s_or_b64 s[46:47], vcc, s[46:47]
	s_andn2_b64 vcc, s[48:49], exec
	s_and_b64 s[48:49], s[50:51], exec
	s_or_b64 s[48:49], vcc, s[48:49]
	s_andn2_b64 exec, exec, s[46:47]
	s_cbranch_execz .LBB10_89
.LBB10_85:                              ;   Parent Loop BB10_59 Depth=1
                                        ; =>  This Inner Loop Header: Depth=2
	s_add_i32 s57, s57, 1
	s_cmpk_lg_i32 s57, 0x2710
	s_cselect_b64 s[52:53], -1, 0
	s_and_b64 vcc, exec, s[52:53]
                                        ; implicit-def: $sgpr54_sgpr55
	s_cbranch_vccnz .LBB10_87
; %bb.86:                               ;   in Loop: Header=BB10_85 Depth=2
	s_trap 2
	ds_read_b64 v[0:1], v0
	s_andn2_b64 s[52:53], s[52:53], exec
	s_mov_b32 s57, 0
	s_mov_b64 s[54:55], -1
	s_waitcnt vmcnt(0) lgkmcnt(0)
	flat_load_dword v0, v[0:1] sc0 sc1
	s_waitcnt vmcnt(0) lgkmcnt(0)
	buffer_inv sc0 sc1
	v_cmp_eq_u32_e32 vcc, 0, v0
	s_and_b64 vcc, vcc, exec
	s_or_b64 s[52:53], s[52:53], vcc
.LBB10_87:                              ;   in Loop: Header=BB10_85 Depth=2
	s_andn2_b64 s[50:51], s[50:51], exec
	s_and_b64 s[54:55], s[54:55], exec
	s_mov_b64 vcc, -1
	s_or_b64 s[50:51], s[50:51], s[54:55]
	s_and_saveexec_b64 s[54:55], s[52:53]
	s_cbranch_execz .LBB10_84
; %bb.88:                               ;   in Loop: Header=BB10_85 Depth=2
	s_sleep 1
	s_trap 2
	ds_read_b64 v[0:1], v0
	s_andn2_b64 s[50:51], s[50:51], exec
	s_waitcnt lgkmcnt(0)
	v_cmp_ge_u64_e32 vcc, v[0:1], v[18:19]
	s_orn2_b64 vcc, vcc, exec
	s_branch .LBB10_84
.LBB10_89:                              ;   in Loop: Header=BB10_59 Depth=1
	s_or_b64 exec, exec, s[46:47]
	s_and_saveexec_b64 vcc, s[48:49]
	s_xor_b64 vcc, exec, vcc
	s_cbranch_execz .LBB10_91
; %bb.90:                               ;   in Loop: Header=BB10_59 Depth=1
	v_mov_b32_e32 v0, 1
	ds_write_b32 v0, v0
	s_trap 2
.LBB10_91:                              ;   in Loop: Header=BB10_59 Depth=1
	s_or_b64 exec, exec, s[44:45]
	;;#ASMSTART
	s_wakeup
	;;#ASMEND
.LBB10_92:                              ;   in Loop: Header=BB10_59 Depth=1
	s_or_b64 exec, exec, s[42:43]
.LBB10_93:                              ;   in Loop: Header=BB10_59 Depth=1
	s_andn2_saveexec_b64 vcc, s[40:41]
	s_cbranch_execz .LBB10_95
; %bb.94:                               ;   in Loop: Header=BB10_59 Depth=1
	s_waitcnt lgkmcnt(0)
	s_barrier
.LBB10_95:                              ;   in Loop: Header=BB10_59 Depth=1
	s_or_b64 exec, exec, vcc
.LBB10_96:                              ;   in Loop: Header=BB10_59 Depth=1
	s_or_b64 exec, exec, s[16:17]
	v_sub_u32_e32 v50, v3, v40
	v_cmp_lt_i32_e32 vcc, 0, v50
	v_accvgpr_read_b32 v0, a2
	s_and_saveexec_b64 s[40:41], vcc
	s_cbranch_execnz .LBB10_124
; %bb.97:                               ;   in Loop: Header=BB10_59 Depth=1
	s_or_b64 exec, exec, s[40:41]
	s_and_saveexec_b64 s[16:17], s[10:11]
	s_cbranch_execnz .LBB10_189
.LBB10_98:                              ;   in Loop: Header=BB10_59 Depth=1
	s_or_b64 exec, exec, s[16:17]
	s_and_saveexec_b64 s[16:17], s[14:15]
	s_cbranch_execz .LBB10_100
.LBB10_99:                              ;   in Loop: Header=BB10_59 Depth=1
	v_accvgpr_read_b32 v10, a16
	v_lshl_add_u64 v[44:45], v[44:45], 0, 1
	v_accvgpr_read_b32 v11, a17
	flat_store_dwordx2 v[10:11], v[44:45] sc0 sc1
.LBB10_100:                             ;   in Loop: Header=BB10_59 Depth=1
	s_or_b64 exec, exec, s[16:17]
	v_and_b32_e32 v50, 0x7ffffff8, v26
	v_cmp_eq_u64_e32 vcc, s[34:35], v[50:51]
	v_cmp_gt_i32_e64 s[16:17], v62, v0
	s_and_b64 vcc, vcc, s[16:17]
	s_and_saveexec_b64 s[16:17], vcc
	s_cbranch_execz .LBB10_103
; %bb.101:                              ;   in Loop: Header=BB10_59 Depth=1
	v_and_b32_e32 v1, 7, v26
	v_mul_lo_u32 v12, v1, v62
	v_ashrrev_i32_e32 v13, 31, v12
	v_ashrrev_i32_e32 v1, 31, v0
	v_lshlrev_b64 v[12:13], 4, v[12:13]
	v_accvgpr_read_b32 v17, a13
	v_mov_b32_e32 v10, v51
	v_mov_b32_e32 v11, v26
	v_lshl_add_u64 v[12:13], v[0:1], 4, v[12:13]
	v_accvgpr_read_b32 v16, a12
	v_lshl_add_u64 v[10:11], v[10:11], 0, s[28:29]
	v_lshl_add_u64 v[16:17], v[16:17], 0, v[12:13]
	s_mov_b64 s[40:41], 0
.LBB10_102:                             ;   Parent Loop BB10_59 Depth=1
                                        ; =>  This Inner Loop Header: Depth=2
	v_add_u32_e32 v0, v0, v2
	v_mov_b32_e32 v12, v10
	v_mov_b32_e32 v13, v11
	v_cmp_ge_i32_e32 vcc, v0, v62
	global_store_dwordx4 v[16:17], v[10:13], off
	s_or_b64 s[40:41], vcc, s[40:41]
	v_lshl_add_u64 v[16:17], v[16:17], 0, v[46:47]
	s_andn2_b64 exec, exec, s[40:41]
	s_cbranch_execnz .LBB10_102
.LBB10_103:                             ;   in Loop: Header=BB10_59 Depth=1
	s_or_b64 exec, exec, s[16:17]
	v_lshl_add_u64 v[14:15], v[14:15], 0, 1
	v_lshl_add_u64 v[26:27], v[26:27], 0, 1
                                        ; implicit-def: $vgpr3
                                        ; implicit-def: $vgpr10_vgpr11
.LBB10_104:                             ;   in Loop: Header=BB10_59 Depth=1
	s_andn2_saveexec_b64 s[38:39], s[38:39]
	s_cbranch_execz .LBB10_116
; %bb.105:                              ;   in Loop: Header=BB10_59 Depth=1
	v_sub_u32_e32 v3, v3, v40
	v_cmp_lt_i32_e32 vcc, 0, v3
	s_and_saveexec_b64 s[40:41], vcc
	s_cbranch_execnz .LBB10_156
; %bb.106:                              ;   in Loop: Header=BB10_59 Depth=1
	s_or_b64 exec, exec, s[40:41]
	s_and_saveexec_b64 s[16:17], s[10:11]
	s_cbranch_execnz .LBB10_201
.LBB10_107:                             ;   in Loop: Header=BB10_59 Depth=1
	s_or_b64 exec, exec, s[16:17]
	s_and_saveexec_b64 s[16:17], s[14:15]
	s_cbranch_execz .LBB10_109
.LBB10_108:                             ;   in Loop: Header=BB10_59 Depth=1
	v_accvgpr_read_b32 v0, a16
	v_lshl_add_u64 v[44:45], v[44:45], 0, 1
	v_accvgpr_read_b32 v1, a17
	flat_store_dwordx2 v[0:1], v[44:45] sc0 sc1
.LBB10_109:                             ;   in Loop: Header=BB10_59 Depth=1
	s_or_b64 exec, exec, s[16:17]
	v_lshl_add_u64 v[14:15], v[14:15], 0, 1
	s_or_b64 exec, exec, s[38:39]
                                        ; implicit-def: $vgpr3
.LBB10_110:                             ;   in Loop: Header=BB10_59 Depth=1
	s_andn2_saveexec_b64 s[36:37], s[36:37]
	s_cbranch_execz .LBB10_58
.LBB10_111:                             ;   in Loop: Header=BB10_59 Depth=1
	v_add_u32_e32 v0, 7, v3
	v_ashrrev_i32_e32 v1, 31, v0
	v_lshrrev_b32_e32 v1, 29, v1
	v_add_u32_e32 v0, v0, v1
	v_ashrrev_i32_e32 v10, 3, v0
	s_and_saveexec_b64 s[16:17], s[30:31]
	s_xor_b64 s[38:39], exec, s[16:17]
	s_cbranch_execz .LBB10_280
; %bb.112:                              ;   in Loop: Header=BB10_59 Depth=1
	s_and_saveexec_b64 s[16:17], s[6:7]
	s_cbranch_execz .LBB10_217
; %bb.113:                              ;   in Loop: Header=BB10_59 Depth=1
	v_lshl_add_u64 v[0:1], v[8:9], 0, 1
	s_waitcnt vmcnt(0) lgkmcnt(0)
	v_lshl_add_u64 v[12:13], v[38:39], 0, 8
	v_cmp_lt_u64_e32 vcc, v[12:13], v[0:1]
	s_and_saveexec_b64 s[40:41], vcc
	s_cbranch_execz .LBB10_214
; %bb.114:                              ;   in Loop: Header=BB10_59 Depth=1
	s_sleep 1
	flat_load_dwordx2 v[38:39], v[28:29] sc1
	v_cmp_eq_u32_e32 vcc, 0, v31
	s_and_saveexec_b64 s[42:43], vcc
	s_cbranch_execz .LBB10_213
; %bb.115:                              ;   in Loop: Header=BB10_59 Depth=1
	v_cndmask_b32_e64 v9, 0, 1, vcc
	s_mov_b64 s[44:45], 0
                                        ; implicit-def: $sgpr46_sgpr47
	s_branch .LBB10_120
.LBB10_116:                             ;   in Loop: Header=BB10_59 Depth=1
	s_or_b64 exec, exec, s[38:39]
                                        ; implicit-def: $vgpr3
	s_andn2_saveexec_b64 s[36:37], s[36:37]
	s_cbranch_execz .LBB10_58
	s_branch .LBB10_111
.LBB10_117:                             ;   in Loop: Header=BB10_120 Depth=2
	s_or_b64 exec, exec, s[54:55]
	s_orn2_b64 s[52:53], s[52:53], exec
.LBB10_118:                             ;   in Loop: Header=BB10_120 Depth=2
	s_or_b64 exec, exec, s[50:51]
	s_xor_b64 vcc, s[52:53], -1
	s_andn2_b64 s[46:47], s[46:47], exec
	s_and_b64 vcc, vcc, exec
	s_or_b64 s[46:47], s[46:47], vcc
.LBB10_119:                             ;   in Loop: Header=BB10_120 Depth=2
	s_or_b64 exec, exec, s[48:49]
	s_and_b64 vcc, exec, s[46:47]
	s_or_b64 s[44:45], vcc, s[44:45]
	s_andn2_b64 exec, exec, s[44:45]
	s_cbranch_execz .LBB10_212
.LBB10_120:                             ;   Parent Loop BB10_59 Depth=1
                                        ; =>  This Inner Loop Header: Depth=2
	s_waitcnt vmcnt(0) lgkmcnt(0)
	v_lshl_add_u64 v[12:13], v[38:39], 0, 8
	v_cmp_lt_u64_e32 vcc, v[12:13], v[0:1]
	v_mov_b32_e32 v31, 0
	s_or_b64 s[46:47], s[46:47], exec
	s_and_saveexec_b64 s[48:49], vcc
	s_cbranch_execz .LBB10_119
; %bb.121:                              ;   in Loop: Header=BB10_120 Depth=2
	s_sleep 1
	flat_load_dwordx2 v[38:39], v[28:29] sc1
	v_add_u32_e32 v9, 1, v9
	v_cmp_eq_u32_e32 vcc, s56, v9
	s_mov_b64 s[52:53], -1
	v_mov_b32_e32 v31, 0
	s_and_saveexec_b64 s[50:51], vcc
	s_cbranch_execz .LBB10_118
; %bb.122:                              ;   in Loop: Header=BB10_120 Depth=2
	s_trap 2
	ds_read_b64 v[12:13], v0
	v_mov_b32_e32 v9, 0
	v_mov_b32_e32 v31, 0
	s_waitcnt vmcnt(0) lgkmcnt(0)
	flat_load_dword v11, v[12:13] sc0 sc1
	s_waitcnt vmcnt(0) lgkmcnt(0)
	buffer_inv sc0 sc1
	v_cmp_ne_u32_e32 vcc, 0, v11
	s_and_saveexec_b64 s[54:55], vcc
	s_cbranch_execz .LBB10_117
; %bb.123:                              ;   in Loop: Header=BB10_120 Depth=2
	v_mov_b32_e32 v31, 1
	s_xor_b64 s[52:53], exec, -1
	ds_write_b32 v0, v11
	s_trap 2
	s_branch .LBB10_117
.LBB10_124:                             ;   in Loop: Header=BB10_59 Depth=1
	v_accvgpr_read_b32 v0, a22
	v_accvgpr_read_b32 v1, a23
	v_lshl_add_u64 v[20:21], v[0:1], 0, v[10:11]
	v_and_b32_e32 v0, 7, v14
	v_mul_lo_u32 v0, v0, v62
	v_accvgpr_read_b32 v10, a10
	v_accvgpr_write_b32 a14, v44
	v_ashrrev_i32_e32 v1, 31, v0
	v_accvgpr_read_b32 v11, a11
	v_accvgpr_write_b32 a15, v45
	v_lshl_add_u64 v[44:45], v[0:1], 4, v[10:11]
	v_and_b32_e32 v0, 7, v26
	v_mul_lo_u32 v0, v0, v62
	v_accvgpr_read_b32 v10, a12
	v_ashrrev_i32_e32 v1, 31, v0
	v_accvgpr_read_b32 v11, a13
	v_lshl_add_u64 v[16:17], v[0:1], 4, v[10:11]
	v_mov_b32_e32 v0, v51
	v_mov_b32_e32 v1, v26
	v_add_u32_e32 v24, 1, v14
	v_lshl_add_u64 v[54:55], v[0:1], 0, s[28:29]
	s_mov_b64 s[42:43], 0
	v_accvgpr_read_b32 v0, a2
	s_branch .LBB10_126
.LBB10_125:                             ;   in Loop: Header=BB10_126 Depth=2
	v_sub_u32_e32 v50, v50, v42
	v_cmp_gt_i32_e32 vcc, 1, v50
	v_lshl_add_u64 v[20:21], v[20:21], 0, v[42:43]
	s_or_b64 s[42:43], vcc, s[42:43]
	v_add_u32_e32 v0, v0, v2
	s_andn2_b64 exec, exec, s[42:43]
	s_cbranch_execz .LBB10_188
.LBB10_126:                             ;   Parent Loop BB10_59 Depth=1
                                        ; =>  This Loop Header: Depth=2
                                        ;       Child Loop BB10_130 Depth 3
	v_ashrrev_i32_e32 v1, 31, v0
	v_lshl_add_u64 v[32:33], v[0:1], 4, v[44:45]
	global_load_dwordx4 v[10:13], v[32:33], off nt
	v_cmp_eq_u32_e32 vcc, 0, v31
	s_and_saveexec_b64 s[44:45], vcc
	s_cbranch_execz .LBB10_138
; %bb.127:                              ;   in Loop: Header=BB10_126 Depth=2
	s_waitcnt vmcnt(0)
	v_cmp_ne_u32_e32 vcc, v24, v11
	v_cmp_ne_u32_e64 s[16:17], v24, v13
	s_or_b64 s[16:17], vcc, s[16:17]
	v_mov_b32_e32 v31, 0
	s_and_saveexec_b64 s[46:47], s[16:17]
	s_cbranch_execz .LBB10_137
; %bb.128:                              ;   in Loop: Header=BB10_126 Depth=2
	s_mov_b32 s52, 1
	s_mov_b64 s[48:49], 0
	v_mov_b32_e32 v31, 0
	s_branch .LBB10_130
.LBB10_129:                             ;   in Loop: Header=BB10_130 Depth=3
	s_or_b64 exec, exec, s[50:51]
	s_and_b64 s[16:17], exec, s[16:17]
	s_or_b64 s[48:49], s[16:17], s[48:49]
	s_andn2_b64 exec, exec, s[48:49]
	s_cbranch_execz .LBB10_136
.LBB10_130:                             ;   Parent Loop BB10_59 Depth=1
                                        ;     Parent Loop BB10_126 Depth=2
                                        ; =>    This Inner Loop Header: Depth=3
	global_load_dwordx4 v[10:13], v[32:33], off nt
	s_add_i32 s52, s52, 1
	s_cmpk_lg_i32 s52, 0x2710
	s_cbranch_scc1 .LBB10_134
; %bb.131:                              ;   in Loop: Header=BB10_130 Depth=3
	s_trap 2
	ds_read_b64 v[22:23], v0
	s_waitcnt vmcnt(0) lgkmcnt(0)
	flat_load_dword v3, v[22:23] sc0 sc1
	s_waitcnt vmcnt(0) lgkmcnt(0)
	buffer_inv sc0 sc1
	v_cmp_ne_u32_e32 vcc, 0, v3
	s_and_saveexec_b64 s[16:17], vcc
	s_cbranch_execz .LBB10_133
; %bb.132:                              ;   in Loop: Header=BB10_130 Depth=3
	v_mov_b32_e32 v31, 1
	ds_write_b32 v0, v3
	s_trap 2
.LBB10_133:                             ;   in Loop: Header=BB10_130 Depth=3
	s_or_b64 exec, exec, s[16:17]
	s_mov_b32 s52, 0
	v_mov_b32_e32 v3, v31
	v_cmp_eq_u32_e32 vcc, 0, v3
	s_mov_b64 s[16:17], -1
	s_and_saveexec_b64 s[50:51], vcc
	s_cbranch_execz .LBB10_129
	s_branch .LBB10_135
.LBB10_134:                             ;   in Loop: Header=BB10_130 Depth=3
	v_mov_b32_e32 v3, 0
	v_cmp_eq_u32_e32 vcc, 0, v3
	s_mov_b64 s[16:17], -1
	s_and_saveexec_b64 s[50:51], vcc
	s_cbranch_execz .LBB10_129
.LBB10_135:                             ;   in Loop: Header=BB10_130 Depth=3
	s_waitcnt vmcnt(0)
	v_cmp_eq_u32_e32 vcc, v24, v11
	v_cmp_eq_u32_e64 s[16:17], v24, v13
	s_and_b64 s[16:17], vcc, s[16:17]
	s_orn2_b64 s[16:17], s[16:17], exec
	s_branch .LBB10_129
.LBB10_136:                             ;   in Loop: Header=BB10_126 Depth=2
	s_or_b64 exec, exec, s[48:49]
.LBB10_137:                             ;   in Loop: Header=BB10_126 Depth=2
	s_or_b64 exec, exec, s[46:47]
.LBB10_138:                             ;   in Loop: Header=BB10_126 Depth=2
	s_or_b64 exec, exec, s[44:45]
	v_cmp_lt_u32_e32 vcc, 7, v50
	v_lshl_add_u64 v[22:23], v[0:1], 4, v[16:17]
	s_waitcnt vmcnt(0)
	v_or_b32_e32 v32, v10, v54
	v_or_b32_e32 v34, v12, v54
	v_mov_b32_e32 v33, v55
	v_mov_b32_e32 v35, v55
	v_cndmask_b32_e64 v1, 0, 1, vcc
	global_store_dwordx4 v[22:23], v[32:35], off
	;;#ASMSTART
	;;#ASMEND
	v_mov_b32_e32 v3, v12
	v_cmp_ne_u32_e64 s[16:17], 0, v1
	s_cmp_lg_u64 s[16:17], exec
	s_mov_b64 s[16:17], -1
	s_cbranch_scc0 .LBB10_148
; %bb.139:                              ;   in Loop: Header=BB10_126 Depth=2
	v_cmp_ne_u32_e64 s[16:17], 1, v50
	flat_store_byte v[20:21], v10
	s_and_saveexec_b64 s[44:45], s[16:17]
	s_cbranch_execnz .LBB10_150
; %bb.140:                              ;   in Loop: Header=BB10_126 Depth=2
	s_or_b64 exec, exec, s[44:45]
	v_cmp_lt_u32_e64 s[16:17], 2, v50
	s_and_saveexec_b64 s[44:45], s[16:17]
	s_cbranch_execnz .LBB10_151
.LBB10_141:                             ;   in Loop: Header=BB10_126 Depth=2
	s_or_b64 exec, exec, s[44:45]
	v_cmp_lt_u32_e64 s[16:17], 3, v50
	s_and_saveexec_b64 s[44:45], s[16:17]
	s_cbranch_execnz .LBB10_152
.LBB10_142:                             ;   in Loop: Header=BB10_126 Depth=2
	s_or_b64 exec, exec, s[44:45]
	v_cmp_lt_u32_e64 s[16:17], 4, v50
	s_and_saveexec_b64 s[44:45], s[16:17]
	s_cbranch_execnz .LBB10_153
.LBB10_143:                             ;   in Loop: Header=BB10_126 Depth=2
	s_or_b64 exec, exec, s[44:45]
	v_cmp_lt_u32_e64 s[16:17], 5, v50
	s_and_saveexec_b64 s[44:45], s[16:17]
	s_cbranch_execnz .LBB10_154
.LBB10_144:                             ;   in Loop: Header=BB10_126 Depth=2
	s_or_b64 exec, exec, s[44:45]
	v_cmp_lt_u32_e64 s[16:17], 6, v50
	s_and_saveexec_b64 s[44:45], s[16:17]
	s_cbranch_execnz .LBB10_155
.LBB10_145:                             ;   in Loop: Header=BB10_126 Depth=2
	s_or_b64 exec, exec, s[44:45]
	s_and_saveexec_b64 s[16:17], vcc
	s_cbranch_execz .LBB10_147
.LBB10_146:                             ;   in Loop: Header=BB10_126 Depth=2
	v_lshrrev_b32_e32 v1, 24, v3
	flat_store_byte v[20:21], v1 offset:7
.LBB10_147:                             ;   in Loop: Header=BB10_126 Depth=2
	s_or_b64 exec, exec, s[16:17]
	s_mov_b64 s[16:17], 0
.LBB10_148:                             ;   in Loop: Header=BB10_126 Depth=2
	s_and_b64 vcc, exec, s[16:17]
	s_cbranch_vccz .LBB10_125
; %bb.149:                              ;   in Loop: Header=BB10_126 Depth=2
	v_or_b32_e32 v11, 0, v3
	global_store_dwordx2 v[20:21], v[10:11], off
	s_branch .LBB10_125
.LBB10_150:                             ;   in Loop: Header=BB10_126 Depth=2
	v_lshrrev_b32_e32 v1, 8, v10
	flat_store_byte v[20:21], v1 offset:1
	s_or_b64 exec, exec, s[44:45]
	v_cmp_lt_u32_e64 s[16:17], 2, v50
	s_and_saveexec_b64 s[44:45], s[16:17]
	s_cbranch_execz .LBB10_141
.LBB10_151:                             ;   in Loop: Header=BB10_126 Depth=2
	flat_store_byte_d16_hi v[20:21], v10 offset:2
	s_or_b64 exec, exec, s[44:45]
	v_cmp_lt_u32_e64 s[16:17], 3, v50
	s_and_saveexec_b64 s[44:45], s[16:17]
	s_cbranch_execz .LBB10_142
.LBB10_152:                             ;   in Loop: Header=BB10_126 Depth=2
	v_lshrrev_b32_e32 v1, 24, v10
	flat_store_byte v[20:21], v1 offset:3
	s_or_b64 exec, exec, s[44:45]
	v_cmp_lt_u32_e64 s[16:17], 4, v50
	s_and_saveexec_b64 s[44:45], s[16:17]
	s_cbranch_execz .LBB10_143
.LBB10_153:                             ;   in Loop: Header=BB10_126 Depth=2
	flat_store_byte v[20:21], v12 offset:4
	s_or_b64 exec, exec, s[44:45]
	v_cmp_lt_u32_e64 s[16:17], 5, v50
	s_and_saveexec_b64 s[44:45], s[16:17]
	s_cbranch_execz .LBB10_144
.LBB10_154:                             ;   in Loop: Header=BB10_126 Depth=2
	v_lshrrev_b32_e32 v1, 8, v3
	flat_store_byte v[20:21], v1 offset:5
	s_or_b64 exec, exec, s[44:45]
	v_cmp_lt_u32_e64 s[16:17], 6, v50
	s_and_saveexec_b64 s[44:45], s[16:17]
	s_cbranch_execz .LBB10_145
.LBB10_155:                             ;   in Loop: Header=BB10_126 Depth=2
	flat_store_byte_d16_hi v[20:21], v3 offset:6
	s_or_b64 exec, exec, s[44:45]
	s_and_saveexec_b64 s[16:17], vcc
	s_cbranch_execnz .LBB10_146
	s_branch .LBB10_147
.LBB10_156:                             ;   in Loop: Header=BB10_59 Depth=1
	v_accvgpr_read_b32 v0, a22
	v_accvgpr_read_b32 v1, a23
	v_lshl_add_u64 v[0:1], v[0:1], 0, v[10:11]
	v_and_b32_e32 v10, 7, v14
	v_mul_lo_u32 v10, v10, v62
	v_accvgpr_read_b32 v13, a11
	v_ashrrev_i32_e32 v11, 31, v10
	v_accvgpr_read_b32 v12, a10
	v_lshl_add_u64 v[16:17], v[10:11], 4, v[12:13]
	v_add_u32_e32 v24, 1, v14
	s_mov_b64 s[42:43], 0
	v_accvgpr_read_b32 v20, a2
	s_branch .LBB10_158
.LBB10_157:                             ;   in Loop: Header=BB10_158 Depth=2
	v_sub_u32_e32 v3, v3, v42
	v_cmp_gt_i32_e32 vcc, 1, v3
	v_lshl_add_u64 v[0:1], v[0:1], 0, v[42:43]
	s_or_b64 s[42:43], vcc, s[42:43]
	v_add_u32_e32 v20, v20, v2
	s_andn2_b64 exec, exec, s[42:43]
	s_cbranch_execz .LBB10_200
.LBB10_158:                             ;   Parent Loop BB10_59 Depth=1
                                        ; =>  This Loop Header: Depth=2
                                        ;       Child Loop BB10_162 Depth 3
	v_ashrrev_i32_e32 v21, 31, v20
	v_lshl_add_u64 v[54:55], v[20:21], 4, v[16:17]
	global_load_dwordx4 v[10:13], v[54:55], off nt
	v_cmp_eq_u32_e32 vcc, 0, v31
	s_and_saveexec_b64 s[44:45], vcc
	s_cbranch_execz .LBB10_170
; %bb.159:                              ;   in Loop: Header=BB10_158 Depth=2
	s_waitcnt vmcnt(0)
	v_cmp_ne_u32_e32 vcc, v24, v11
	v_cmp_ne_u32_e64 s[16:17], v24, v13
	s_or_b64 s[16:17], vcc, s[16:17]
	v_mov_b32_e32 v31, 0
	s_and_saveexec_b64 s[46:47], s[16:17]
	s_cbranch_execz .LBB10_169
; %bb.160:                              ;   in Loop: Header=BB10_158 Depth=2
	s_mov_b32 s52, 1
	s_mov_b64 s[48:49], 0
	v_mov_b32_e32 v31, 0
	s_branch .LBB10_162
.LBB10_161:                             ;   in Loop: Header=BB10_162 Depth=3
	s_or_b64 exec, exec, s[50:51]
	s_and_b64 s[16:17], exec, s[16:17]
	s_or_b64 s[48:49], s[16:17], s[48:49]
	s_andn2_b64 exec, exec, s[48:49]
	s_cbranch_execz .LBB10_168
.LBB10_162:                             ;   Parent Loop BB10_59 Depth=1
                                        ;     Parent Loop BB10_158 Depth=2
                                        ; =>    This Inner Loop Header: Depth=3
	global_load_dwordx4 v[10:13], v[54:55], off nt
	s_add_i32 s52, s52, 1
	s_cmpk_lg_i32 s52, 0x2710
	s_cbranch_scc1 .LBB10_166
; %bb.163:                              ;   in Loop: Header=BB10_162 Depth=3
	s_trap 2
	ds_read_b64 v[22:23], v0
	s_waitcnt vmcnt(0) lgkmcnt(0)
	flat_load_dword v21, v[22:23] sc0 sc1
	s_waitcnt vmcnt(0) lgkmcnt(0)
	buffer_inv sc0 sc1
	v_cmp_ne_u32_e32 vcc, 0, v21
	s_and_saveexec_b64 s[16:17], vcc
	s_cbranch_execz .LBB10_165
; %bb.164:                              ;   in Loop: Header=BB10_162 Depth=3
	v_mov_b32_e32 v31, 1
	ds_write_b32 v0, v21
	s_trap 2
.LBB10_165:                             ;   in Loop: Header=BB10_162 Depth=3
	s_or_b64 exec, exec, s[16:17]
	s_mov_b32 s52, 0
	v_mov_b32_e32 v21, v31
	v_cmp_eq_u32_e32 vcc, 0, v21
	s_mov_b64 s[16:17], -1
	s_and_saveexec_b64 s[50:51], vcc
	s_cbranch_execz .LBB10_161
	s_branch .LBB10_167
.LBB10_166:                             ;   in Loop: Header=BB10_162 Depth=3
	v_mov_b32_e32 v21, 0
	v_cmp_eq_u32_e32 vcc, 0, v21
	s_mov_b64 s[16:17], -1
	s_and_saveexec_b64 s[50:51], vcc
	s_cbranch_execz .LBB10_161
.LBB10_167:                             ;   in Loop: Header=BB10_162 Depth=3
	s_waitcnt vmcnt(0)
	v_cmp_eq_u32_e32 vcc, v24, v11
	v_cmp_eq_u32_e64 s[16:17], v24, v13
	s_and_b64 s[16:17], vcc, s[16:17]
	s_orn2_b64 s[16:17], s[16:17], exec
	s_branch .LBB10_161
.LBB10_168:                             ;   in Loop: Header=BB10_158 Depth=2
	s_or_b64 exec, exec, s[48:49]
.LBB10_169:                             ;   in Loop: Header=BB10_158 Depth=2
	s_or_b64 exec, exec, s[46:47]
.LBB10_170:                             ;   in Loop: Header=BB10_158 Depth=2
	s_or_b64 exec, exec, s[44:45]
	v_cmp_lt_u32_e32 vcc, 7, v3
	s_waitcnt vmcnt(0)
	v_mov_b32_e32 v11, v12
	v_cndmask_b32_e64 v13, 0, 1, vcc
	;;#ASMSTART
	;;#ASMEND
	s_nop 0
	v_cmp_ne_u32_e64 s[16:17], 0, v13
	s_cmp_lg_u64 s[16:17], exec
	s_mov_b64 s[16:17], -1
	s_cbranch_scc0 .LBB10_180
; %bb.171:                              ;   in Loop: Header=BB10_158 Depth=2
	v_cmp_ne_u32_e64 s[16:17], 1, v3
	flat_store_byte v[0:1], v10
	s_and_saveexec_b64 s[44:45], s[16:17]
	s_cbranch_execnz .LBB10_182
; %bb.172:                              ;   in Loop: Header=BB10_158 Depth=2
	s_or_b64 exec, exec, s[44:45]
	v_cmp_lt_u32_e64 s[16:17], 2, v3
	s_and_saveexec_b64 s[44:45], s[16:17]
	s_cbranch_execnz .LBB10_183
.LBB10_173:                             ;   in Loop: Header=BB10_158 Depth=2
	s_or_b64 exec, exec, s[44:45]
	v_cmp_lt_u32_e64 s[16:17], 3, v3
	s_and_saveexec_b64 s[44:45], s[16:17]
	s_cbranch_execnz .LBB10_184
.LBB10_174:                             ;   in Loop: Header=BB10_158 Depth=2
	s_or_b64 exec, exec, s[44:45]
	v_cmp_lt_u32_e64 s[16:17], 4, v3
	s_and_saveexec_b64 s[44:45], s[16:17]
	s_cbranch_execnz .LBB10_185
.LBB10_175:                             ;   in Loop: Header=BB10_158 Depth=2
	s_or_b64 exec, exec, s[44:45]
	v_cmp_lt_u32_e64 s[16:17], 5, v3
	s_and_saveexec_b64 s[44:45], s[16:17]
	s_cbranch_execnz .LBB10_186
.LBB10_176:                             ;   in Loop: Header=BB10_158 Depth=2
	s_or_b64 exec, exec, s[44:45]
	v_cmp_lt_u32_e64 s[16:17], 6, v3
	s_and_saveexec_b64 s[44:45], s[16:17]
	s_cbranch_execnz .LBB10_187
.LBB10_177:                             ;   in Loop: Header=BB10_158 Depth=2
	s_or_b64 exec, exec, s[44:45]
	s_and_saveexec_b64 s[16:17], vcc
	s_cbranch_execz .LBB10_179
.LBB10_178:                             ;   in Loop: Header=BB10_158 Depth=2
	v_lshrrev_b32_e32 v12, 24, v11
	flat_store_byte v[0:1], v12 offset:7
.LBB10_179:                             ;   in Loop: Header=BB10_158 Depth=2
	s_or_b64 exec, exec, s[16:17]
	s_mov_b64 s[16:17], 0
.LBB10_180:                             ;   in Loop: Header=BB10_158 Depth=2
	s_and_b64 vcc, exec, s[16:17]
	s_cbranch_vccz .LBB10_157
; %bb.181:                              ;   in Loop: Header=BB10_158 Depth=2
	global_store_dwordx2 v[0:1], v[10:11], off
	s_branch .LBB10_157
.LBB10_182:                             ;   in Loop: Header=BB10_158 Depth=2
	v_lshrrev_b32_e32 v13, 8, v10
	flat_store_byte v[0:1], v13 offset:1
	s_or_b64 exec, exec, s[44:45]
	v_cmp_lt_u32_e64 s[16:17], 2, v3
	s_and_saveexec_b64 s[44:45], s[16:17]
	s_cbranch_execz .LBB10_173
.LBB10_183:                             ;   in Loop: Header=BB10_158 Depth=2
	flat_store_byte_d16_hi v[0:1], v10 offset:2
	s_or_b64 exec, exec, s[44:45]
	v_cmp_lt_u32_e64 s[16:17], 3, v3
	s_and_saveexec_b64 s[44:45], s[16:17]
	s_cbranch_execz .LBB10_174
.LBB10_184:                             ;   in Loop: Header=BB10_158 Depth=2
	v_lshrrev_b32_e32 v13, 24, v10
	flat_store_byte v[0:1], v13 offset:3
	s_or_b64 exec, exec, s[44:45]
	v_cmp_lt_u32_e64 s[16:17], 4, v3
	s_and_saveexec_b64 s[44:45], s[16:17]
	s_cbranch_execz .LBB10_175
.LBB10_185:                             ;   in Loop: Header=BB10_158 Depth=2
	flat_store_byte v[0:1], v12 offset:4
	s_or_b64 exec, exec, s[44:45]
	v_cmp_lt_u32_e64 s[16:17], 5, v3
	s_and_saveexec_b64 s[44:45], s[16:17]
	s_cbranch_execz .LBB10_176
.LBB10_186:                             ;   in Loop: Header=BB10_158 Depth=2
	v_lshrrev_b32_e32 v12, 8, v11
	flat_store_byte v[0:1], v12 offset:5
	s_or_b64 exec, exec, s[44:45]
	v_cmp_lt_u32_e64 s[16:17], 6, v3
	s_and_saveexec_b64 s[44:45], s[16:17]
	s_cbranch_execz .LBB10_177
.LBB10_187:                             ;   in Loop: Header=BB10_158 Depth=2
	flat_store_byte_d16_hi v[0:1], v11 offset:6
	s_or_b64 exec, exec, s[44:45]
	s_and_saveexec_b64 s[16:17], vcc
	s_cbranch_execnz .LBB10_178
	s_branch .LBB10_179
.LBB10_188:                             ;   in Loop: Header=BB10_59 Depth=1
	s_or_b64 exec, exec, s[42:43]
	v_accvgpr_read_b32 v35, a1
	v_accvgpr_read_b32 v45, a15
	;; [unrolled: 1-line block ×7, first 2 shown]
	s_or_b64 exec, exec, s[40:41]
	s_and_saveexec_b64 s[16:17], s[10:11]
	s_cbranch_execz .LBB10_98
.LBB10_189:                             ;   in Loop: Header=BB10_59 Depth=1
	s_and_saveexec_b64 vcc, s[26:27]
	s_xor_b64 s[40:41], exec, vcc
	s_cbranch_execz .LBB10_233
; %bb.190:                              ;   in Loop: Header=BB10_59 Depth=1
	s_and_saveexec_b64 s[42:43], s[12:13]
	s_cbranch_execz .LBB10_232
; %bb.191:                              ;   in Loop: Header=BB10_59 Depth=1
	s_mov_b64 s[46:47], exec
	v_mbcnt_lo_u32_b32 v1, s46, 0
	v_mbcnt_hi_u32_b32 v1, s47, v1
	v_cmp_eq_u32_e32 vcc, 0, v1
	s_waitcnt lgkmcnt(0)
	s_and_saveexec_b64 s[44:45], vcc
	s_cbranch_execz .LBB10_193
; %bb.192:                              ;   in Loop: Header=BB10_59 Depth=1
	s_bcnt1_i32_b64 vcc_lo, s[46:47]
	v_mov_b32_e32 v50, vcc_lo
	ds_add_u64 v0, v[50:51]
	s_trap 2
.LBB10_193:                             ;   in Loop: Header=BB10_59 Depth=1
	s_or_b64 exec, exec, s[44:45]
	s_trap 2
	ds_read_b64 v[10:11], v0
	v_accvgpr_read_b32 v12, a20
	v_accvgpr_read_b32 v13, a21
	v_lshl_add_u64 v[18:19], v[18:19], 0, v[12:13]
	s_waitcnt lgkmcnt(0)
	v_cmp_lt_u64_e32 vcc, v[10:11], v[18:19]
	s_and_saveexec_b64 s[44:45], vcc
	s_cbranch_execz .LBB10_231
; %bb.194:                              ;   in Loop: Header=BB10_59 Depth=1
	s_mov_b32 s57, 0
	s_mov_b64 s[46:47], 0
                                        ; implicit-def: $sgpr48_sgpr49
                                        ; implicit-def: $sgpr50_sgpr51
	s_branch .LBB10_196
.LBB10_195:                             ;   in Loop: Header=BB10_196 Depth=2
	s_or_b64 exec, exec, s[54:55]
	s_and_b64 vcc, exec, vcc
	s_or_b64 s[46:47], vcc, s[46:47]
	s_andn2_b64 vcc, s[48:49], exec
	s_and_b64 s[48:49], s[50:51], exec
	s_or_b64 s[48:49], vcc, s[48:49]
	s_andn2_b64 exec, exec, s[46:47]
	s_cbranch_execz .LBB10_229
.LBB10_196:                             ;   Parent Loop BB10_59 Depth=1
                                        ; =>  This Inner Loop Header: Depth=2
	s_add_i32 s57, s57, 1
	s_cmpk_lg_i32 s57, 0x2710
	s_cselect_b64 s[52:53], -1, 0
	s_and_b64 vcc, exec, s[52:53]
                                        ; implicit-def: $sgpr54_sgpr55
	s_cbranch_vccnz .LBB10_198
; %bb.197:                              ;   in Loop: Header=BB10_196 Depth=2
	s_trap 2
	ds_read_b64 v[10:11], v0
	s_andn2_b64 s[52:53], s[52:53], exec
	s_mov_b32 s57, 0
	s_mov_b64 s[54:55], -1
	s_waitcnt vmcnt(0) lgkmcnt(0)
	flat_load_dword v1, v[10:11] sc0 sc1
	s_waitcnt vmcnt(0) lgkmcnt(0)
	buffer_inv sc0 sc1
	v_cmp_eq_u32_e32 vcc, 0, v1
	s_and_b64 vcc, vcc, exec
	s_or_b64 s[52:53], s[52:53], vcc
.LBB10_198:                             ;   in Loop: Header=BB10_196 Depth=2
	s_andn2_b64 s[50:51], s[50:51], exec
	s_and_b64 s[54:55], s[54:55], exec
	s_mov_b64 vcc, -1
	s_or_b64 s[50:51], s[50:51], s[54:55]
	s_and_saveexec_b64 s[54:55], s[52:53]
	s_cbranch_execz .LBB10_195
; %bb.199:                              ;   in Loop: Header=BB10_196 Depth=2
	s_sleep 1
	s_trap 2
	ds_read_b64 v[10:11], v0
	s_andn2_b64 s[50:51], s[50:51], exec
	s_waitcnt lgkmcnt(0)
	v_cmp_ge_u64_e32 vcc, v[10:11], v[18:19]
	s_orn2_b64 vcc, vcc, exec
	s_branch .LBB10_195
.LBB10_200:                             ;   in Loop: Header=BB10_59 Depth=1
	s_or_b64 exec, exec, s[42:43]
	v_accvgpr_read_b32 v23, a19
	v_accvgpr_read_b32 v22, a18
	;; [unrolled: 1-line block ×3, first 2 shown]
	s_or_b64 exec, exec, s[40:41]
	s_and_saveexec_b64 s[16:17], s[10:11]
	s_cbranch_execz .LBB10_107
.LBB10_201:                             ;   in Loop: Header=BB10_59 Depth=1
	s_and_saveexec_b64 vcc, s[26:27]
	s_xor_b64 s[40:41], exec, vcc
	s_cbranch_execz .LBB10_240
; %bb.202:                              ;   in Loop: Header=BB10_59 Depth=1
	s_and_saveexec_b64 s[42:43], s[12:13]
	s_cbranch_execz .LBB10_239
; %bb.203:                              ;   in Loop: Header=BB10_59 Depth=1
	s_mov_b64 s[46:47], exec
	v_mbcnt_lo_u32_b32 v0, s46, 0
	v_mbcnt_hi_u32_b32 v0, s47, v0
	v_cmp_eq_u32_e32 vcc, 0, v0
	s_waitcnt lgkmcnt(0)
	s_and_saveexec_b64 s[44:45], vcc
	s_cbranch_execz .LBB10_205
; %bb.204:                              ;   in Loop: Header=BB10_59 Depth=1
	s_bcnt1_i32_b64 vcc_lo, s[46:47]
	v_mov_b32_e32 v50, vcc_lo
	ds_add_u64 v0, v[50:51]
	s_trap 2
.LBB10_205:                             ;   in Loop: Header=BB10_59 Depth=1
	s_or_b64 exec, exec, s[44:45]
	s_trap 2
	ds_read_b64 v[0:1], v0
	v_accvgpr_read_b32 v10, a20
	v_accvgpr_read_b32 v11, a21
	v_lshl_add_u64 v[18:19], v[18:19], 0, v[10:11]
	s_waitcnt lgkmcnt(0)
	v_cmp_lt_u64_e32 vcc, v[0:1], v[18:19]
	s_and_saveexec_b64 s[44:45], vcc
	s_cbranch_execz .LBB10_238
; %bb.206:                              ;   in Loop: Header=BB10_59 Depth=1
	s_mov_b32 s57, 0
	s_mov_b64 s[46:47], 0
                                        ; implicit-def: $sgpr48_sgpr49
                                        ; implicit-def: $sgpr50_sgpr51
	s_branch .LBB10_208
.LBB10_207:                             ;   in Loop: Header=BB10_208 Depth=2
	s_or_b64 exec, exec, s[54:55]
	s_and_b64 vcc, exec, vcc
	s_or_b64 s[46:47], vcc, s[46:47]
	s_andn2_b64 vcc, s[48:49], exec
	s_and_b64 s[48:49], s[50:51], exec
	s_or_b64 s[48:49], vcc, s[48:49]
	s_andn2_b64 exec, exec, s[46:47]
	s_cbranch_execz .LBB10_236
.LBB10_208:                             ;   Parent Loop BB10_59 Depth=1
                                        ; =>  This Inner Loop Header: Depth=2
	s_add_i32 s57, s57, 1
	s_cmpk_lg_i32 s57, 0x2710
	s_cselect_b64 s[52:53], -1, 0
	s_and_b64 vcc, exec, s[52:53]
                                        ; implicit-def: $sgpr54_sgpr55
	s_cbranch_vccnz .LBB10_210
; %bb.209:                              ;   in Loop: Header=BB10_208 Depth=2
	s_trap 2
	ds_read_b64 v[0:1], v0
	s_andn2_b64 s[52:53], s[52:53], exec
	s_mov_b32 s57, 0
	s_mov_b64 s[54:55], -1
	s_waitcnt vmcnt(0) lgkmcnt(0)
	flat_load_dword v0, v[0:1] sc0 sc1
	s_waitcnt vmcnt(0) lgkmcnt(0)
	buffer_inv sc0 sc1
	v_cmp_eq_u32_e32 vcc, 0, v0
	s_and_b64 vcc, vcc, exec
	s_or_b64 s[52:53], s[52:53], vcc
.LBB10_210:                             ;   in Loop: Header=BB10_208 Depth=2
	s_andn2_b64 s[50:51], s[50:51], exec
	s_and_b64 s[54:55], s[54:55], exec
	s_mov_b64 vcc, -1
	s_or_b64 s[50:51], s[50:51], s[54:55]
	s_and_saveexec_b64 s[54:55], s[52:53]
	s_cbranch_execz .LBB10_207
; %bb.211:                              ;   in Loop: Header=BB10_208 Depth=2
	s_sleep 1
	s_trap 2
	ds_read_b64 v[0:1], v0
	s_andn2_b64 s[50:51], s[50:51], exec
	s_waitcnt lgkmcnt(0)
	v_cmp_ge_u64_e32 vcc, v[0:1], v[18:19]
	s_orn2_b64 vcc, vcc, exec
	s_branch .LBB10_207
.LBB10_212:                             ;   in Loop: Header=BB10_59 Depth=1
	s_or_b64 exec, exec, s[44:45]
.LBB10_213:                             ;   in Loop: Header=BB10_59 Depth=1
	s_or_b64 exec, exec, s[42:43]
.LBB10_214:                             ;   in Loop: Header=BB10_59 Depth=1
	s_or_b64 exec, exec, s[40:41]
	s_and_saveexec_b64 s[40:41], s[8:9]
	s_cbranch_execz .LBB10_216
; %bb.215:                              ;   in Loop: Header=BB10_59 Depth=1
	v_and_b32_e32 v50, 0x7ffffff8, v8
	v_cmp_eq_u64_e32 vcc, s[34:35], v[50:51]
	v_and_b32_e32 v8, 7, v8
	s_nop 0
	v_cndmask_b32_e32 v9, v10, v62, vcc
	v_lshlrev_b32_e32 v10, 4, v9
	v_ashrrev_i32_e32 v11, 31, v10
	v_mad_u64_u32 v[8:9], vcc, v8, 24, v[6:7]
	flat_store_dwordx2 v[8:9], v[10:11] offset:8 sc0 sc1
	s_waitcnt vmcnt(0)
.LBB10_216:                             ;   in Loop: Header=BB10_59 Depth=1
	s_or_b64 exec, exec, s[40:41]
	v_mov_b64_e32 v[8:9], v[0:1]
.LBB10_217:                             ;   in Loop: Header=BB10_59 Depth=1
	s_or_b64 exec, exec, s[16:17]
	s_and_saveexec_b64 s[16:17], s[10:11]
	s_cbranch_execz .LBB10_250
; %bb.218:                              ;   in Loop: Header=BB10_59 Depth=1
	s_and_saveexec_b64 vcc, s[26:27]
	s_xor_b64 s[40:41], exec, vcc
	s_cbranch_execz .LBB10_247
; %bb.219:                              ;   in Loop: Header=BB10_59 Depth=1
	s_and_saveexec_b64 s[42:43], s[12:13]
	s_cbranch_execz .LBB10_246
; %bb.220:                              ;   in Loop: Header=BB10_59 Depth=1
	s_mov_b64 s[46:47], exec
	v_mbcnt_lo_u32_b32 v0, s46, 0
	v_mbcnt_hi_u32_b32 v0, s47, v0
	v_cmp_eq_u32_e32 vcc, 0, v0
	s_waitcnt lgkmcnt(0)
	s_and_saveexec_b64 s[44:45], vcc
	s_cbranch_execz .LBB10_222
; %bb.221:                              ;   in Loop: Header=BB10_59 Depth=1
	s_bcnt1_i32_b64 vcc_lo, s[46:47]
	v_mov_b32_e32 v50, vcc_lo
	ds_add_u64 v0, v[50:51]
	s_trap 2
.LBB10_222:                             ;   in Loop: Header=BB10_59 Depth=1
	s_or_b64 exec, exec, s[44:45]
	s_trap 2
	ds_read_b64 v[0:1], v0
	v_accvgpr_read_b32 v10, a20
	v_accvgpr_read_b32 v11, a21
	v_lshl_add_u64 v[18:19], v[18:19], 0, v[10:11]
	s_waitcnt lgkmcnt(0)
	v_cmp_lt_u64_e32 vcc, v[0:1], v[18:19]
	s_and_saveexec_b64 s[44:45], vcc
	s_cbranch_execz .LBB10_245
; %bb.223:                              ;   in Loop: Header=BB10_59 Depth=1
	s_mov_b32 s57, 0
	s_mov_b64 s[46:47], 0
                                        ; implicit-def: $sgpr48_sgpr49
                                        ; implicit-def: $sgpr50_sgpr51
	s_branch .LBB10_225
.LBB10_224:                             ;   in Loop: Header=BB10_225 Depth=2
	s_or_b64 exec, exec, s[54:55]
	s_and_b64 vcc, exec, vcc
	s_or_b64 s[46:47], vcc, s[46:47]
	s_andn2_b64 vcc, s[48:49], exec
	s_and_b64 s[48:49], s[50:51], exec
	s_or_b64 s[48:49], vcc, s[48:49]
	s_andn2_b64 exec, exec, s[46:47]
	s_cbranch_execz .LBB10_243
.LBB10_225:                             ;   Parent Loop BB10_59 Depth=1
                                        ; =>  This Inner Loop Header: Depth=2
	s_add_i32 s57, s57, 1
	s_cmpk_lg_i32 s57, 0x2710
	s_cselect_b64 s[52:53], -1, 0
	s_and_b64 vcc, exec, s[52:53]
                                        ; implicit-def: $sgpr54_sgpr55
	s_cbranch_vccnz .LBB10_227
; %bb.226:                              ;   in Loop: Header=BB10_225 Depth=2
	s_trap 2
	ds_read_b64 v[0:1], v0
	s_andn2_b64 s[52:53], s[52:53], exec
	s_mov_b32 s57, 0
	s_mov_b64 s[54:55], -1
	s_waitcnt vmcnt(0) lgkmcnt(0)
	flat_load_dword v0, v[0:1] sc0 sc1
	s_waitcnt vmcnt(0) lgkmcnt(0)
	buffer_inv sc0 sc1
	v_cmp_eq_u32_e32 vcc, 0, v0
	s_and_b64 vcc, vcc, exec
	s_or_b64 s[52:53], s[52:53], vcc
.LBB10_227:                             ;   in Loop: Header=BB10_225 Depth=2
	s_andn2_b64 s[50:51], s[50:51], exec
	s_and_b64 s[54:55], s[54:55], exec
	s_mov_b64 vcc, -1
	s_or_b64 s[50:51], s[50:51], s[54:55]
	s_and_saveexec_b64 s[54:55], s[52:53]
	s_cbranch_execz .LBB10_224
; %bb.228:                              ;   in Loop: Header=BB10_225 Depth=2
	s_sleep 1
	s_trap 2
	ds_read_b64 v[0:1], v0
	s_andn2_b64 s[50:51], s[50:51], exec
	s_waitcnt lgkmcnt(0)
	v_cmp_ge_u64_e32 vcc, v[0:1], v[18:19]
	s_orn2_b64 vcc, vcc, exec
	s_branch .LBB10_224
.LBB10_229:                             ;   in Loop: Header=BB10_59 Depth=1
	s_or_b64 exec, exec, s[46:47]
	s_and_saveexec_b64 vcc, s[48:49]
	s_xor_b64 vcc, exec, vcc
	s_cbranch_execz .LBB10_231
; %bb.230:                              ;   in Loop: Header=BB10_59 Depth=1
	v_mov_b32_e32 v1, 1
	ds_write_b32 v0, v1
	s_trap 2
.LBB10_231:                             ;   in Loop: Header=BB10_59 Depth=1
	s_or_b64 exec, exec, s[44:45]
	;;#ASMSTART
	s_wakeup
	;;#ASMEND
.LBB10_232:                             ;   in Loop: Header=BB10_59 Depth=1
	s_or_b64 exec, exec, s[42:43]
.LBB10_233:                             ;   in Loop: Header=BB10_59 Depth=1
	s_andn2_saveexec_b64 vcc, s[40:41]
	s_cbranch_execz .LBB10_235
; %bb.234:                              ;   in Loop: Header=BB10_59 Depth=1
	s_waitcnt lgkmcnt(0)
	s_barrier
.LBB10_235:                             ;   in Loop: Header=BB10_59 Depth=1
	s_or_b64 exec, exec, vcc
	s_or_b64 exec, exec, s[16:17]
	s_and_saveexec_b64 s[16:17], s[14:15]
	s_cbranch_execnz .LBB10_99
	s_branch .LBB10_100
.LBB10_236:                             ;   in Loop: Header=BB10_59 Depth=1
	s_or_b64 exec, exec, s[46:47]
	s_and_saveexec_b64 vcc, s[48:49]
	s_xor_b64 vcc, exec, vcc
	s_cbranch_execz .LBB10_238
; %bb.237:                              ;   in Loop: Header=BB10_59 Depth=1
	v_mov_b32_e32 v0, 1
	ds_write_b32 v0, v0
	s_trap 2
.LBB10_238:                             ;   in Loop: Header=BB10_59 Depth=1
	s_or_b64 exec, exec, s[44:45]
	;;#ASMSTART
	s_wakeup
	;;#ASMEND
.LBB10_239:                             ;   in Loop: Header=BB10_59 Depth=1
	s_or_b64 exec, exec, s[42:43]
.LBB10_240:                             ;   in Loop: Header=BB10_59 Depth=1
	s_andn2_saveexec_b64 vcc, s[40:41]
	s_cbranch_execz .LBB10_242
; %bb.241:                              ;   in Loop: Header=BB10_59 Depth=1
	s_waitcnt lgkmcnt(0)
	s_barrier
.LBB10_242:                             ;   in Loop: Header=BB10_59 Depth=1
	s_or_b64 exec, exec, vcc
	s_or_b64 exec, exec, s[16:17]
	s_and_saveexec_b64 s[16:17], s[14:15]
	s_cbranch_execnz .LBB10_108
	s_branch .LBB10_109
.LBB10_243:                             ;   in Loop: Header=BB10_59 Depth=1
	s_or_b64 exec, exec, s[46:47]
	s_and_saveexec_b64 vcc, s[48:49]
	s_xor_b64 vcc, exec, vcc
	s_cbranch_execz .LBB10_245
; %bb.244:                              ;   in Loop: Header=BB10_59 Depth=1
	v_mov_b32_e32 v0, 1
	ds_write_b32 v0, v0
	s_trap 2
.LBB10_245:                             ;   in Loop: Header=BB10_59 Depth=1
	s_or_b64 exec, exec, s[44:45]
	;;#ASMSTART
	s_wakeup
	;;#ASMEND
.LBB10_246:                             ;   in Loop: Header=BB10_59 Depth=1
	s_or_b64 exec, exec, s[42:43]
.LBB10_247:                             ;   in Loop: Header=BB10_59 Depth=1
	s_andn2_saveexec_b64 vcc, s[40:41]
	s_cbranch_execz .LBB10_249
; %bb.248:                              ;   in Loop: Header=BB10_59 Depth=1
	s_waitcnt lgkmcnt(0)
	s_barrier
.LBB10_249:                             ;   in Loop: Header=BB10_59 Depth=1
	s_or_b64 exec, exec, vcc
.LBB10_250:                             ;   in Loop: Header=BB10_59 Depth=1
	s_or_b64 exec, exec, s[16:17]
	v_sub_u32_e32 v1, v3, v40
	v_cmp_lt_i32_e32 vcc, 0, v1
	v_accvgpr_read_b32 v0, a2
	s_and_saveexec_b64 s[40:41], vcc
	s_cbranch_execz .LBB10_276
; %bb.251:                              ;   in Loop: Header=BB10_59 Depth=1
	v_and_b32_e32 v0, 7, v26
	v_mul_lo_u32 v12, v0, v62
	v_accvgpr_read_b32 v16, a24
	v_accvgpr_write_b32 a14, v44
	v_ashrrev_i32_e32 v13, 31, v12
	v_mov_b32_e32 v10, v51
	v_mov_b32_e32 v11, v26
	v_accvgpr_read_b32 v17, a25
	v_accvgpr_write_b32 a15, v45
	v_lshl_add_u64 v[10:11], v[10:11], 0, s[28:29]
	v_lshl_add_u64 v[12:13], v[12:13], 4, v[16:17]
	s_mov_b64 s[42:43], 0
	v_mov_b64_e32 v[16:17], v[60:61]
	v_mov_b32_e32 v3, v52
	v_mov_b64_e32 v[20:21], v[56:57]
	v_accvgpr_read_b32 v0, a2
	s_branch .LBB10_253
.LBB10_252:                             ;   in Loop: Header=BB10_253 Depth=2
	v_sub_u32_e32 v1, v1, v42
	v_cmp_gt_i32_e32 vcc, 1, v1
	v_add_u32_e32 v0, v0, v2
	v_lshl_add_u64 v[20:21], v[20:21], 0, v[42:43]
	v_add_u32_e32 v3, v3, v53
	v_lshl_add_u64 v[16:17], v[16:17], 0, v[42:43]
	s_or_b64 s[42:43], vcc, s[42:43]
	v_lshl_add_u64 v[12:13], v[12:13], 0, v[46:47]
	s_andn2_b64 exec, exec, s[42:43]
	s_cbranch_execz .LBB10_275
.LBB10_253:                             ;   Parent Loop BB10_59 Depth=1
                                        ; =>  This Inner Loop Header: Depth=2
	v_lshl_add_u64 v[22:23], v[40:41], 0, v[20:21]
	v_and_b32_e32 v32, -4, v22
	v_mov_b32_e32 v33, v23
	global_load_dword v24, v[32:33], off nt
	v_min_u32_e32 v50, 8, v1
	v_and_b32_e32 v54, 3, v22
	v_mov_b32_e32 v55, 0
	v_lshl_add_u64 v[44:45], v[54:55], 0, v[50:51]
	v_cmp_lt_u64_e32 vcc, 4, v[44:45]
	v_mov_b32_e32 v25, 0
	s_and_saveexec_b64 s[16:17], vcc
	s_cbranch_execz .LBB10_255
; %bb.254:                              ;   in Loop: Header=BB10_253 Depth=2
	global_load_dword v25, v[32:33], off offset:4 nt
.LBB10_255:                             ;   in Loop: Header=BB10_253 Depth=2
	s_or_b64 exec, exec, s[16:17]
	v_cmp_lt_u64_e32 vcc, 8, v[44:45]
	s_and_saveexec_b64 s[16:17], vcc
	s_cbranch_execz .LBB10_257
; %bb.256:                              ;   in Loop: Header=BB10_253 Depth=2
	global_load_dword v55, v[32:33], off offset:8 nt
.LBB10_257:                             ;   in Loop: Header=BB10_253 Depth=2
	s_or_b64 exec, exec, s[16:17]
	s_waitcnt vmcnt(0)
	v_alignbit_b32 v54, v25, v24, v3
	v_alignbit_b32 v55, v55, v25, v3
	v_or_b32_e32 v22, v10, v54
	v_or_b32_e32 v24, v10, v55
	v_mov_b32_e32 v23, v11
	v_mov_b32_e32 v25, v11
	v_cmp_lt_u32_e32 vcc, 7, v1
	global_store_dwordx4 v[12:13], v[22:25], off
	v_lshl_add_u64 v[32:33], v[16:17], 0, v[40:41]
	s_nop 0
	v_cndmask_b32_e64 v22, 0, 1, vcc
	;;#ASMSTART
	;;#ASMEND
	s_nop 0
	v_cmp_ne_u32_e64 s[16:17], 0, v22
	s_cmp_lg_u64 s[16:17], exec
	s_mov_b64 s[16:17], -1
	s_cbranch_scc0 .LBB10_267
; %bb.258:                              ;   in Loop: Header=BB10_253 Depth=2
	v_cmp_ne_u32_e64 s[16:17], 1, v1
	flat_store_byte v[32:33], v54
	s_and_saveexec_b64 s[44:45], s[16:17]
	s_cbranch_execnz .LBB10_269
; %bb.259:                              ;   in Loop: Header=BB10_253 Depth=2
	s_or_b64 exec, exec, s[44:45]
	v_cmp_lt_u32_e64 s[16:17], 2, v1
	s_and_saveexec_b64 s[44:45], s[16:17]
	s_cbranch_execnz .LBB10_270
.LBB10_260:                             ;   in Loop: Header=BB10_253 Depth=2
	s_or_b64 exec, exec, s[44:45]
	v_cmp_lt_u32_e64 s[16:17], 3, v1
	s_and_saveexec_b64 s[44:45], s[16:17]
	s_cbranch_execnz .LBB10_271
.LBB10_261:                             ;   in Loop: Header=BB10_253 Depth=2
	s_or_b64 exec, exec, s[44:45]
	v_cmp_lt_u32_e64 s[16:17], 4, v1
	s_and_saveexec_b64 s[44:45], s[16:17]
	s_cbranch_execnz .LBB10_272
.LBB10_262:                             ;   in Loop: Header=BB10_253 Depth=2
	s_or_b64 exec, exec, s[44:45]
	v_cmp_lt_u32_e64 s[16:17], 5, v1
	s_and_saveexec_b64 s[44:45], s[16:17]
	s_cbranch_execnz .LBB10_273
.LBB10_263:                             ;   in Loop: Header=BB10_253 Depth=2
	s_or_b64 exec, exec, s[44:45]
	v_cmp_lt_u32_e64 s[16:17], 6, v1
	s_and_saveexec_b64 s[44:45], s[16:17]
	s_cbranch_execnz .LBB10_274
.LBB10_264:                             ;   in Loop: Header=BB10_253 Depth=2
	s_or_b64 exec, exec, s[44:45]
	s_and_saveexec_b64 s[16:17], vcc
	s_cbranch_execz .LBB10_266
.LBB10_265:                             ;   in Loop: Header=BB10_253 Depth=2
	v_lshrrev_b32_e32 v22, 24, v55
	flat_store_byte v[32:33], v22 offset:7
.LBB10_266:                             ;   in Loop: Header=BB10_253 Depth=2
	s_or_b64 exec, exec, s[16:17]
	s_mov_b64 s[16:17], 0
.LBB10_267:                             ;   in Loop: Header=BB10_253 Depth=2
	s_and_b64 vcc, exec, s[16:17]
	s_cbranch_vccz .LBB10_252
; %bb.268:                              ;   in Loop: Header=BB10_253 Depth=2
	global_store_dwordx2 v[32:33], v[54:55], off
	s_branch .LBB10_252
.LBB10_269:                             ;   in Loop: Header=BB10_253 Depth=2
	v_lshrrev_b32_e32 v22, 8, v54
	flat_store_byte v[32:33], v22 offset:1
	s_or_b64 exec, exec, s[44:45]
	v_cmp_lt_u32_e64 s[16:17], 2, v1
	s_and_saveexec_b64 s[44:45], s[16:17]
	s_cbranch_execz .LBB10_260
.LBB10_270:                             ;   in Loop: Header=BB10_253 Depth=2
	flat_store_byte_d16_hi v[32:33], v54 offset:2
	s_or_b64 exec, exec, s[44:45]
	v_cmp_lt_u32_e64 s[16:17], 3, v1
	s_and_saveexec_b64 s[44:45], s[16:17]
	s_cbranch_execz .LBB10_261
.LBB10_271:                             ;   in Loop: Header=BB10_253 Depth=2
	v_lshrrev_b32_e32 v22, 24, v54
	flat_store_byte v[32:33], v22 offset:3
	s_or_b64 exec, exec, s[44:45]
	v_cmp_lt_u32_e64 s[16:17], 4, v1
	s_and_saveexec_b64 s[44:45], s[16:17]
	s_cbranch_execz .LBB10_262
.LBB10_272:                             ;   in Loop: Header=BB10_253 Depth=2
	flat_store_byte v[32:33], v55 offset:4
	s_or_b64 exec, exec, s[44:45]
	v_cmp_lt_u32_e64 s[16:17], 5, v1
	s_and_saveexec_b64 s[44:45], s[16:17]
	s_cbranch_execz .LBB10_263
.LBB10_273:                             ;   in Loop: Header=BB10_253 Depth=2
	v_lshrrev_b32_e32 v22, 8, v55
	flat_store_byte v[32:33], v22 offset:5
	s_or_b64 exec, exec, s[44:45]
	v_cmp_lt_u32_e64 s[16:17], 6, v1
	s_and_saveexec_b64 s[44:45], s[16:17]
	s_cbranch_execz .LBB10_264
.LBB10_274:                             ;   in Loop: Header=BB10_253 Depth=2
	flat_store_byte_d16_hi v[32:33], v55 offset:6
	s_or_b64 exec, exec, s[44:45]
	s_and_saveexec_b64 s[16:17], vcc
	s_cbranch_execnz .LBB10_265
	s_branch .LBB10_266
.LBB10_275:                             ;   in Loop: Header=BB10_59 Depth=1
	s_or_b64 exec, exec, s[42:43]
	v_accvgpr_read_b32 v35, a1
	v_accvgpr_read_b32 v45, a15
	v_accvgpr_read_b32 v23, a19
	v_accvgpr_read_b32 v34, a0
	v_accvgpr_read_b32 v44, a14
	v_accvgpr_read_b32 v22, a18
	v_accvgpr_read_b32 v20, a3
.LBB10_276:                             ;   in Loop: Header=BB10_59 Depth=1
	s_or_b64 exec, exec, s[40:41]
	v_and_b32_e32 v50, 0x7ffffff8, v26
	v_cmp_eq_u64_e32 vcc, s[34:35], v[50:51]
	v_cmp_gt_i32_e64 s[16:17], v62, v0
	s_and_b64 vcc, vcc, s[16:17]
	s_and_saveexec_b64 s[16:17], vcc
	s_cbranch_execz .LBB10_279
; %bb.277:                              ;   in Loop: Header=BB10_59 Depth=1
	v_and_b32_e32 v1, 7, v26
	v_mul_lo_u32 v12, v1, v62
	v_ashrrev_i32_e32 v13, 31, v12
	v_ashrrev_i32_e32 v1, 31, v0
	v_lshlrev_b64 v[12:13], 4, v[12:13]
	v_accvgpr_read_b32 v17, a13
	v_mov_b32_e32 v10, v51
	v_mov_b32_e32 v11, v26
	v_lshl_add_u64 v[12:13], v[0:1], 4, v[12:13]
	v_accvgpr_read_b32 v16, a12
	v_lshl_add_u64 v[10:11], v[10:11], 0, s[28:29]
	v_lshl_add_u64 v[16:17], v[16:17], 0, v[12:13]
	s_mov_b64 s[40:41], 0
.LBB10_278:                             ;   Parent Loop BB10_59 Depth=1
                                        ; =>  This Inner Loop Header: Depth=2
	v_add_u32_e32 v0, v0, v2
	v_mov_b32_e32 v12, v10
	v_mov_b32_e32 v13, v11
	v_cmp_ge_i32_e32 vcc, v0, v62
	global_store_dwordx4 v[16:17], v[10:13], off
	s_or_b64 s[40:41], vcc, s[40:41]
	v_lshl_add_u64 v[16:17], v[16:17], 0, v[46:47]
	s_andn2_b64 exec, exec, s[40:41]
	s_cbranch_execnz .LBB10_278
.LBB10_279:                             ;   in Loop: Header=BB10_59 Depth=1
	s_or_b64 exec, exec, s[16:17]
	v_lshl_add_u64 v[26:27], v[26:27], 0, 1
                                        ; implicit-def: $vgpr10
                                        ; implicit-def: $vgpr3
.LBB10_280:                             ;   in Loop: Header=BB10_59 Depth=1
	s_andn2_saveexec_b64 s[38:39], s[38:39]
	s_cbranch_execz .LBB10_57
; %bb.281:                              ;   in Loop: Header=BB10_59 Depth=1
	s_and_saveexec_b64 s[16:17], s[6:7]
	s_cbranch_execz .LBB10_297
; %bb.282:                              ;   in Loop: Header=BB10_59 Depth=1
	v_lshl_add_u64 v[0:1], v[8:9], 0, 1
	s_waitcnt vmcnt(0) lgkmcnt(0)
	v_lshl_add_u64 v[12:13], v[38:39], 0, 8
	v_cmp_lt_u64_e32 vcc, v[12:13], v[0:1]
	s_and_saveexec_b64 s[40:41], vcc
	s_cbranch_execz .LBB10_294
; %bb.283:                              ;   in Loop: Header=BB10_59 Depth=1
	s_sleep 1
	flat_load_dwordx2 v[38:39], v[28:29] sc1
	v_cmp_eq_u32_e32 vcc, 0, v31
	s_and_saveexec_b64 s[42:43], vcc
	s_cbranch_execz .LBB10_293
; %bb.284:                              ;   in Loop: Header=BB10_59 Depth=1
	v_cndmask_b32_e64 v9, 0, 1, vcc
	s_mov_b64 s[44:45], 0
                                        ; implicit-def: $sgpr46_sgpr47
	s_branch .LBB10_288
.LBB10_285:                             ;   in Loop: Header=BB10_288 Depth=2
	s_or_b64 exec, exec, s[54:55]
	s_orn2_b64 s[52:53], s[52:53], exec
.LBB10_286:                             ;   in Loop: Header=BB10_288 Depth=2
	s_or_b64 exec, exec, s[50:51]
	s_xor_b64 vcc, s[52:53], -1
	s_andn2_b64 s[46:47], s[46:47], exec
	s_and_b64 vcc, vcc, exec
	s_or_b64 s[46:47], s[46:47], vcc
.LBB10_287:                             ;   in Loop: Header=BB10_288 Depth=2
	s_or_b64 exec, exec, s[48:49]
	s_and_b64 vcc, exec, s[46:47]
	s_or_b64 s[44:45], vcc, s[44:45]
	s_andn2_b64 exec, exec, s[44:45]
	s_cbranch_execz .LBB10_292
.LBB10_288:                             ;   Parent Loop BB10_59 Depth=1
                                        ; =>  This Inner Loop Header: Depth=2
	s_waitcnt vmcnt(0) lgkmcnt(0)
	v_lshl_add_u64 v[12:13], v[38:39], 0, 8
	v_cmp_lt_u64_e32 vcc, v[12:13], v[0:1]
	v_mov_b32_e32 v31, 0
	s_or_b64 s[46:47], s[46:47], exec
	s_and_saveexec_b64 s[48:49], vcc
	s_cbranch_execz .LBB10_287
; %bb.289:                              ;   in Loop: Header=BB10_288 Depth=2
	s_sleep 1
	flat_load_dwordx2 v[38:39], v[28:29] sc1
	v_add_u32_e32 v9, 1, v9
	v_cmp_eq_u32_e32 vcc, s56, v9
	s_mov_b64 s[52:53], -1
	v_mov_b32_e32 v31, 0
	s_and_saveexec_b64 s[50:51], vcc
	s_cbranch_execz .LBB10_286
; %bb.290:                              ;   in Loop: Header=BB10_288 Depth=2
	s_trap 2
	ds_read_b64 v[12:13], v0
	v_mov_b32_e32 v9, 0
	v_mov_b32_e32 v31, 0
	s_waitcnt vmcnt(0) lgkmcnt(0)
	flat_load_dword v11, v[12:13] sc0 sc1
	s_waitcnt vmcnt(0) lgkmcnt(0)
	buffer_inv sc0 sc1
	v_cmp_ne_u32_e32 vcc, 0, v11
	s_and_saveexec_b64 s[54:55], vcc
	s_cbranch_execz .LBB10_285
; %bb.291:                              ;   in Loop: Header=BB10_288 Depth=2
	v_mov_b32_e32 v31, 1
	s_xor_b64 s[52:53], exec, -1
	ds_write_b32 v0, v11
	s_trap 2
	s_branch .LBB10_285
.LBB10_292:                             ;   in Loop: Header=BB10_59 Depth=1
	s_or_b64 exec, exec, s[44:45]
.LBB10_293:                             ;   in Loop: Header=BB10_59 Depth=1
	s_or_b64 exec, exec, s[42:43]
.LBB10_294:                             ;   in Loop: Header=BB10_59 Depth=1
	s_or_b64 exec, exec, s[40:41]
	s_and_saveexec_b64 s[40:41], s[8:9]
	s_cbranch_execz .LBB10_296
; %bb.295:                              ;   in Loop: Header=BB10_59 Depth=1
	v_and_b32_e32 v50, 0x7ffffff8, v8
	v_cmp_eq_u64_e32 vcc, s[34:35], v[50:51]
	v_and_b32_e32 v8, 7, v8
	s_nop 0
	v_cndmask_b32_e32 v9, v10, v62, vcc
	v_lshlrev_b32_e32 v10, 4, v9
	v_ashrrev_i32_e32 v11, 31, v10
	v_mad_u64_u32 v[8:9], vcc, v8, 24, v[6:7]
	flat_store_dwordx2 v[8:9], v[10:11] offset:8 sc0 sc1
	s_waitcnt vmcnt(0)
.LBB10_296:                             ;   in Loop: Header=BB10_59 Depth=1
	s_or_b64 exec, exec, s[40:41]
	v_mov_b64_e32 v[8:9], v[0:1]
.LBB10_297:                             ;   in Loop: Header=BB10_59 Depth=1
	s_or_b64 exec, exec, s[16:17]
	s_and_saveexec_b64 s[16:17], s[10:11]
	s_cbranch_execz .LBB10_316
; %bb.298:                              ;   in Loop: Header=BB10_59 Depth=1
	s_and_saveexec_b64 vcc, s[26:27]
	s_xor_b64 s[40:41], exec, vcc
	s_cbranch_execz .LBB10_313
; %bb.299:                              ;   in Loop: Header=BB10_59 Depth=1
	s_and_saveexec_b64 s[42:43], s[12:13]
	s_cbranch_execz .LBB10_312
; %bb.300:                              ;   in Loop: Header=BB10_59 Depth=1
	s_mov_b64 s[46:47], exec
	v_mbcnt_lo_u32_b32 v0, s46, 0
	v_mbcnt_hi_u32_b32 v0, s47, v0
	v_cmp_eq_u32_e32 vcc, 0, v0
	s_waitcnt lgkmcnt(0)
	s_and_saveexec_b64 s[44:45], vcc
	s_cbranch_execz .LBB10_302
; %bb.301:                              ;   in Loop: Header=BB10_59 Depth=1
	s_bcnt1_i32_b64 vcc_lo, s[46:47]
	v_mov_b32_e32 v50, vcc_lo
	ds_add_u64 v0, v[50:51]
	s_trap 2
.LBB10_302:                             ;   in Loop: Header=BB10_59 Depth=1
	s_or_b64 exec, exec, s[44:45]
	s_trap 2
	ds_read_b64 v[0:1], v0
	v_accvgpr_read_b32 v10, a20
	v_accvgpr_read_b32 v11, a21
	v_lshl_add_u64 v[18:19], v[18:19], 0, v[10:11]
	s_waitcnt lgkmcnt(0)
	v_cmp_lt_u64_e32 vcc, v[0:1], v[18:19]
	s_and_saveexec_b64 s[44:45], vcc
	s_cbranch_execz .LBB10_311
; %bb.303:                              ;   in Loop: Header=BB10_59 Depth=1
	s_mov_b32 s57, 0
	s_mov_b64 s[46:47], 0
                                        ; implicit-def: $sgpr48_sgpr49
                                        ; implicit-def: $sgpr50_sgpr51
	s_branch .LBB10_305
.LBB10_304:                             ;   in Loop: Header=BB10_305 Depth=2
	s_or_b64 exec, exec, s[54:55]
	s_and_b64 vcc, exec, vcc
	s_or_b64 s[46:47], vcc, s[46:47]
	s_andn2_b64 vcc, s[48:49], exec
	s_and_b64 s[48:49], s[50:51], exec
	s_or_b64 s[48:49], vcc, s[48:49]
	s_andn2_b64 exec, exec, s[46:47]
	s_cbranch_execz .LBB10_309
.LBB10_305:                             ;   Parent Loop BB10_59 Depth=1
                                        ; =>  This Inner Loop Header: Depth=2
	s_add_i32 s57, s57, 1
	s_cmpk_lg_i32 s57, 0x2710
	s_cselect_b64 s[52:53], -1, 0
	s_and_b64 vcc, exec, s[52:53]
                                        ; implicit-def: $sgpr54_sgpr55
	s_cbranch_vccnz .LBB10_307
; %bb.306:                              ;   in Loop: Header=BB10_305 Depth=2
	s_trap 2
	ds_read_b64 v[0:1], v0
	s_andn2_b64 s[52:53], s[52:53], exec
	s_mov_b32 s57, 0
	s_mov_b64 s[54:55], -1
	s_waitcnt vmcnt(0) lgkmcnt(0)
	flat_load_dword v0, v[0:1] sc0 sc1
	s_waitcnt vmcnt(0) lgkmcnt(0)
	buffer_inv sc0 sc1
	v_cmp_eq_u32_e32 vcc, 0, v0
	s_and_b64 vcc, vcc, exec
	s_or_b64 s[52:53], s[52:53], vcc
.LBB10_307:                             ;   in Loop: Header=BB10_305 Depth=2
	s_andn2_b64 s[50:51], s[50:51], exec
	s_and_b64 s[54:55], s[54:55], exec
	s_mov_b64 vcc, -1
	s_or_b64 s[50:51], s[50:51], s[54:55]
	s_and_saveexec_b64 s[54:55], s[52:53]
	s_cbranch_execz .LBB10_304
; %bb.308:                              ;   in Loop: Header=BB10_305 Depth=2
	s_sleep 1
	s_trap 2
	ds_read_b64 v[0:1], v0
	s_andn2_b64 s[50:51], s[50:51], exec
	s_waitcnt lgkmcnt(0)
	v_cmp_ge_u64_e32 vcc, v[0:1], v[18:19]
	s_orn2_b64 vcc, vcc, exec
	s_branch .LBB10_304
.LBB10_309:                             ;   in Loop: Header=BB10_59 Depth=1
	s_or_b64 exec, exec, s[46:47]
	s_and_saveexec_b64 vcc, s[48:49]
	s_xor_b64 vcc, exec, vcc
	s_cbranch_execz .LBB10_311
; %bb.310:                              ;   in Loop: Header=BB10_59 Depth=1
	v_mov_b32_e32 v0, 1
	ds_write_b32 v0, v0
	s_trap 2
.LBB10_311:                             ;   in Loop: Header=BB10_59 Depth=1
	s_or_b64 exec, exec, s[44:45]
	;;#ASMSTART
	s_wakeup
	;;#ASMEND
.LBB10_312:                             ;   in Loop: Header=BB10_59 Depth=1
	s_or_b64 exec, exec, s[42:43]
.LBB10_313:                             ;   in Loop: Header=BB10_59 Depth=1
	s_andn2_saveexec_b64 vcc, s[40:41]
	s_cbranch_execz .LBB10_315
; %bb.314:                              ;   in Loop: Header=BB10_59 Depth=1
	s_waitcnt lgkmcnt(0)
	s_barrier
.LBB10_315:                             ;   in Loop: Header=BB10_59 Depth=1
	s_or_b64 exec, exec, vcc
.LBB10_316:                             ;   in Loop: Header=BB10_59 Depth=1
	s_or_b64 exec, exec, s[16:17]
	v_sub_u32_e32 v3, v3, v40
	v_cmp_lt_i32_e32 vcc, 0, v3
	v_and_b32_e32 v1, 7, v26
	v_accvgpr_read_b32 v0, a2
	s_and_saveexec_b64 s[16:17], vcc
	s_cbranch_execz .LBB10_324
; %bb.317:                              ;   in Loop: Header=BB10_59 Depth=1
	v_mul_lo_u32 v12, v1, v62
	v_accvgpr_read_b32 v16, a24
	v_ashrrev_i32_e32 v13, 31, v12
	v_mov_b32_e32 v10, v51
	v_mov_b32_e32 v11, v26
	v_accvgpr_read_b32 v17, a25
	v_lshl_add_u64 v[10:11], v[10:11], 0, s[28:29]
	v_lshl_add_u64 v[12:13], v[12:13], 4, v[16:17]
	s_mov_b64 s[40:41], 0
	v_mov_b32_e32 v24, v52
	v_mov_b64_e32 v[16:17], v[58:59]
	v_accvgpr_read_b32 v0, a2
	s_branch .LBB10_319
.LBB10_318:                             ;   in Loop: Header=BB10_319 Depth=2
	s_or_b64 exec, exec, s[42:43]
	s_waitcnt vmcnt(0)
	v_alignbit_b32 v20, v32, v25, v24
	v_alignbit_b32 v21, v33, v32, v24
	v_sub_u32_e32 v3, v3, v42
	v_or_b32_e32 v20, v10, v20
	v_or_b32_e32 v22, v10, v21
	v_mov_b32_e32 v21, v11
	v_mov_b32_e32 v23, v11
	v_cmp_gt_i32_e32 vcc, 1, v3
	global_store_dwordx4 v[12:13], v[20:23], off
	v_add_u32_e32 v0, v0, v2
	v_lshl_add_u64 v[16:17], v[16:17], 0, v[42:43]
	v_add_u32_e32 v24, v24, v53
	s_or_b64 s[40:41], vcc, s[40:41]
	v_lshl_add_u64 v[12:13], v[12:13], 0, v[46:47]
	s_andn2_b64 exec, exec, s[40:41]
	s_cbranch_execz .LBB10_323
.LBB10_319:                             ;   Parent Loop BB10_59 Depth=1
                                        ; =>  This Inner Loop Header: Depth=2
	v_and_b32_e32 v20, -4, v16
	v_mov_b32_e32 v21, v17
	global_load_dword v25, v[20:21], off nt
	v_min_u32_e32 v50, 8, v3
	v_and_b32_e32 v32, 3, v16
	v_mov_b32_e32 v33, 0
	v_lshl_add_u64 v[54:55], v[32:33], 0, v[50:51]
	v_cmp_lt_u64_e32 vcc, 4, v[54:55]
	v_mov_b32_e32 v32, 0
	s_and_saveexec_b64 s[42:43], vcc
	s_cbranch_execz .LBB10_321
; %bb.320:                              ;   in Loop: Header=BB10_319 Depth=2
	global_load_dword v32, v[20:21], off offset:4 nt
.LBB10_321:                             ;   in Loop: Header=BB10_319 Depth=2
	s_or_b64 exec, exec, s[42:43]
	v_cmp_lt_u64_e32 vcc, 8, v[54:55]
	s_and_saveexec_b64 s[42:43], vcc
	s_cbranch_execz .LBB10_318
; %bb.322:                              ;   in Loop: Header=BB10_319 Depth=2
	global_load_dword v33, v[20:21], off offset:8 nt
	s_branch .LBB10_318
.LBB10_323:                             ;   in Loop: Header=BB10_59 Depth=1
	s_or_b64 exec, exec, s[40:41]
	v_accvgpr_read_b32 v23, a19
	v_accvgpr_read_b32 v22, a18
	;; [unrolled: 1-line block ×3, first 2 shown]
.LBB10_324:                             ;   in Loop: Header=BB10_59 Depth=1
	s_or_b64 exec, exec, s[16:17]
	v_and_b32_e32 v50, 0x7ffffff8, v26
	v_cmp_eq_u64_e32 vcc, s[34:35], v[50:51]
	v_cmp_gt_i32_e64 s[16:17], v62, v0
	s_and_b64 vcc, vcc, s[16:17]
	s_and_saveexec_b64 s[16:17], vcc
	s_cbranch_execz .LBB10_56
; %bb.325:                              ;   in Loop: Header=BB10_59 Depth=1
	v_mul_lo_u32 v12, v1, v62
	v_ashrrev_i32_e32 v13, 31, v12
	v_ashrrev_i32_e32 v1, 31, v0
	v_lshlrev_b64 v[12:13], 4, v[12:13]
	v_accvgpr_read_b32 v17, a13
	v_mov_b32_e32 v10, v51
	v_mov_b32_e32 v11, v26
	v_lshl_add_u64 v[12:13], v[0:1], 4, v[12:13]
	v_accvgpr_read_b32 v16, a12
	v_lshl_add_u64 v[10:11], v[10:11], 0, s[28:29]
	v_lshl_add_u64 v[16:17], v[16:17], 0, v[12:13]
	s_mov_b64 s[40:41], 0
.LBB10_326:                             ;   Parent Loop BB10_59 Depth=1
                                        ; =>  This Inner Loop Header: Depth=2
	v_add_u32_e32 v0, v0, v2
	v_mov_b32_e32 v12, v10
	v_mov_b32_e32 v13, v11
	v_cmp_ge_i32_e32 vcc, v0, v62
	global_store_dwordx4 v[16:17], v[10:13], off
	s_or_b64 s[40:41], vcc, s[40:41]
	v_lshl_add_u64 v[16:17], v[16:17], 0, v[46:47]
	s_andn2_b64 exec, exec, s[40:41]
	s_cbranch_execnz .LBB10_326
	s_branch .LBB10_56
.LBB10_327:
	s_or_b64 exec, exec, s[24:25]
	v_accvgpr_read_b32 v17, a7
	v_accvgpr_read_b32 v23, a9
	v_mov_b32_e32 v31, v30
	v_accvgpr_read_b32 v20, a4
	v_accvgpr_read_b32 v16, a6
	;; [unrolled: 1-line block ×3, first 2 shown]
	s_or_b64 exec, exec, s[22:23]
	s_and_saveexec_b64 s[2:3], s[20:21]
	s_cbranch_execz .LBB10_53
.LBB10_328:
	s_waitcnt lgkmcnt(0)
	flat_store_dwordx2 v[22:23], v[44:45] offset:104
	s_or_b64 exec, exec, s[2:3]
	s_and_saveexec_b64 s[2:3], s[0:1]
	s_cbranch_execz .LBB10_54
.LBB10_329:
	s_waitcnt lgkmcnt(0)
	flat_store_dwordx2 v[16:17], v[8:9] offset:104
	s_or_b64 exec, exec, s[2:3]
	v_cmp_ne_u32_e32 vcc, 64, v2
	s_and_saveexec_b64 s[0:1], vcc
	s_cbranch_execz .LBB10_347
.LBB10_330:
	v_cmp_ne_u32_sdwa s[2:3], v2, v20 src0_sel:DWORD src1_sel:WORD_0
	s_and_saveexec_b64 s[4:5], s[2:3]
	s_xor_b64 s[2:3], exec, s[4:5]
	s_cbranch_execz .LBB10_345
; %bb.331:
	v_and_b32_e32 v0, 63, v31
	v_cmp_eq_u32_e32 vcc, 0, v0
	s_and_saveexec_b64 s[4:5], vcc
	s_cbranch_execz .LBB10_344
; %bb.332:
	s_mov_b64 s[8:9], exec
	v_mbcnt_lo_u32_b32 v0, s8, 0
	v_mbcnt_hi_u32_b32 v0, s9, v0
	v_cmp_eq_u32_e32 vcc, 0, v0
	s_waitcnt lgkmcnt(0)
	s_and_saveexec_b64 s[6:7], vcc
	s_cbranch_execz .LBB10_334
; %bb.333:
	s_bcnt1_i32_b64 s8, s[8:9]
	v_mov_b32_e32 v0, s8
	v_mov_b32_e32 v1, 0
	ds_add_u64 v0, v[0:1]
	s_trap 2
.LBB10_334:
	s_or_b64 exec, exec, s[6:7]
	v_ashrrev_i32_e32 v0, 31, v2
	v_lshrrev_b32_e32 v0, 26, v0
	s_trap 2
	ds_read_b64 v[4:5], v0
	v_add_u32_e32 v0, v2, v0
	v_ashrrev_i32_e32 v0, 6, v0
	v_ashrrev_i32_e32 v1, 31, v0
	v_lshl_add_u64 v[0:1], v[18:19], 0, v[0:1]
	s_waitcnt lgkmcnt(0)
	v_cmp_lt_u64_e32 vcc, v[4:5], v[0:1]
	s_and_saveexec_b64 s[6:7], vcc
	s_cbranch_execz .LBB10_343
; %bb.335:
	s_mov_b32 s22, 0
	s_mov_b64 s[8:9], 0
                                        ; implicit-def: $sgpr10_sgpr11
                                        ; implicit-def: $sgpr12_sgpr13
	s_branch .LBB10_337
.LBB10_336:                             ;   in Loop: Header=BB10_337 Depth=1
	s_or_b64 exec, exec, s[20:21]
	s_and_b64 s[14:15], exec, s[16:17]
	s_or_b64 s[8:9], s[14:15], s[8:9]
	s_andn2_b64 s[10:11], s[10:11], exec
	s_and_b64 s[14:15], s[12:13], exec
	s_or_b64 s[10:11], s[10:11], s[14:15]
	s_andn2_b64 exec, exec, s[8:9]
	s_cbranch_execz .LBB10_341
.LBB10_337:                             ; =>This Inner Loop Header: Depth=1
	s_add_i32 s22, s22, 1
	s_cmpk_lg_i32 s22, 0x2710
	s_cselect_b64 s[14:15], -1, 0
	s_and_b64 vcc, exec, s[14:15]
                                        ; implicit-def: $sgpr20_sgpr21
	s_cbranch_vccnz .LBB10_339
; %bb.338:                              ;   in Loop: Header=BB10_337 Depth=1
	s_trap 2
	ds_read_b64 v[2:3], v0
	s_andn2_b64 s[14:15], s[14:15], exec
	s_mov_b32 s22, 0
	s_mov_b64 s[20:21], -1
	s_waitcnt vmcnt(0) lgkmcnt(0)
	flat_load_dword v2, v[2:3] sc0 sc1
	s_waitcnt vmcnt(0) lgkmcnt(0)
	buffer_inv sc0 sc1
	v_cmp_eq_u32_e32 vcc, 0, v2
	s_and_b64 s[16:17], vcc, exec
	s_or_b64 s[14:15], s[14:15], s[16:17]
.LBB10_339:                             ;   in Loop: Header=BB10_337 Depth=1
	s_andn2_b64 s[12:13], s[12:13], exec
	s_and_b64 s[20:21], s[20:21], exec
	s_mov_b64 s[16:17], -1
	s_or_b64 s[12:13], s[12:13], s[20:21]
	s_and_saveexec_b64 s[20:21], s[14:15]
	s_cbranch_execz .LBB10_336
; %bb.340:                              ;   in Loop: Header=BB10_337 Depth=1
	s_sleep 1
	s_trap 2
	ds_read_b64 v[2:3], v0
	s_andn2_b64 s[12:13], s[12:13], exec
	s_waitcnt lgkmcnt(0)
	v_cmp_ge_u64_e32 vcc, v[2:3], v[0:1]
	s_orn2_b64 s[16:17], vcc, exec
	s_branch .LBB10_336
.LBB10_341:
	s_or_b64 exec, exec, s[8:9]
	s_and_saveexec_b64 s[8:9], s[10:11]
	s_xor_b64 s[8:9], exec, s[8:9]
	s_cbranch_execz .LBB10_343
; %bb.342:
	v_mov_b32_e32 v0, 1
	ds_write_b32 v0, v0
	s_trap 2
.LBB10_343:
	s_or_b64 exec, exec, s[6:7]
	;;#ASMSTART
	s_wakeup
	;;#ASMEND
.LBB10_344:
	s_or_b64 exec, exec, s[4:5]
.LBB10_345:
	s_andn2_saveexec_b64 s[2:3], s[2:3]
	s_cbranch_execz .LBB10_347
; %bb.346:
	s_waitcnt lgkmcnt(0)
	s_barrier
.LBB10_347:
	s_or_b64 exec, exec, s[0:1]
.LBB10_348:
	s_or_b64 exec, exec, s[18:19]
	scratch_load_dword v62, off, s32        ; 4-byte Folded Reload
	scratch_load_dword v61, off, s32 offset:4 ; 4-byte Folded Reload
	scratch_load_dword v60, off, s32 offset:8 ; 4-byte Folded Reload
	;; [unrolled: 1-line block ×7, first 2 shown]
	v_readlane_b32 s30, v63, 24
	v_readlane_b32 s31, v63, 25
	;; [unrolled: 1-line block ×26, first 2 shown]
	v_accvgpr_read_b32 v46, a31             ;  Reload Reuse
	s_waitcnt lgkmcnt(0)
	v_accvgpr_read_b32 v45, a30             ;  Reload Reuse
	v_accvgpr_read_b32 v44, a29             ;  Reload Reuse
	;; [unrolled: 1-line block ×5, first 2 shown]
	v_accvgpr_read_b32 v40, a5              ;  Reload Reuse
	s_or_saveexec_b64 s[0:1], -1
	scratch_load_dword v63, off, s32 offset:32 ; 4-byte Folded Reload
	s_mov_b64 exec, s[0:1]
	s_waitcnt vmcnt(0)
	s_setpc_b64 s[30:31]
.Lfunc_end10:
	.size	_ZN12_GLOBAL__N_17runRingIa7FuncSumIaE7ProtoLLLi0ELi4ELi0EEEviiP15ncclDevWorkColl, .Lfunc_end10-_ZN12_GLOBAL__N_17runRingIa7FuncSumIaE7ProtoLLLi0ELi4ELi0EEEviiP15ncclDevWorkColl
                                        ; -- End function
	.section	.AMDGPU.csdata,"",@progbits
; Function info:
; codeLenInByte = 11648
; NumSgprs: 64
; NumVgprs: 64
; NumAgprs: 32
; TotalNumVgprs: 96
; ScratchSize: 40
; MemoryBound: 1
	.text
	.p2align	2                               ; -- Begin function _Z42ncclDevFunc_Broadcast_RING_LL_Sum_i8_0_0_4v
	.type	_Z42ncclDevFunc_Broadcast_RING_LL_Sum_i8_0_0_4v,@function
_Z42ncclDevFunc_Broadcast_RING_LL_Sum_i8_0_0_4v: ; @_Z42ncclDevFunc_Broadcast_RING_LL_Sum_i8_0_0_4v
; %bb.0:
	s_waitcnt vmcnt(0) expcnt(0) lgkmcnt(0)
	s_mov_b32 s0, s33
	s_mov_b32 s33, s32
	s_or_saveexec_b64 s[2:3], -1
	scratch_store_dword off, v43, s33 offset:16 ; 4-byte Folded Spill
	s_mov_b64 exec, s[2:3]
	v_writelane_b32 v43, s0, 34
	s_add_i32 s32, s32, 32
	scratch_store_dword off, v40, s33 offset:12 ; 4-byte Folded Spill
	scratch_store_dword off, v41, s33 offset:8 ; 4-byte Folded Spill
	;; [unrolled: 1-line block ×3, first 2 shown]
	scratch_store_dword off, v63, s33       ; 4-byte Folded Spill
	v_writelane_b32 v43, s34, 0
	v_writelane_b32 v43, s35, 1
	;; [unrolled: 1-line block ×33, first 2 shown]
	s_nop 1
	v_writelane_b32 v43, s31, 33
	s_trap 2
	ds_read_b32 v0, v0
	v_mov_b32_e32 v40, v31
	s_mov_b32 s60, s12
	s_mov_b64 s[58:59], s[8:9]
	s_waitcnt lgkmcnt(0)
	v_cmp_gt_i32_e32 vcc, 1, v0
	s_cbranch_vccnz .LBB11_8
; %bb.1:
	s_mov_b32 s61, 0
	v_and_b32_e32 v41, 0x3ff, v40
	s_mov_b64 s[62:63], src_shared_base
	v_mov_b32_e32 v42, 6
	s_branch .LBB11_3
.LBB11_2:                               ;   in Loop: Header=BB11_3 Depth=1
	s_or_b64 exec, exec, s[64:65]
	s_trap 2
	ds_read_b32 v0, v0
	s_add_i32 s61, s61, 1
	s_waitcnt lgkmcnt(0)
	v_cmp_lt_i32_e32 vcc, s61, v0
	s_cbranch_vccz .LBB11_8
.LBB11_3:                               ; =>This Inner Loop Header: Depth=1
	s_trap 2
	ds_read_b32 v0, v0
	s_cmp_eq_u32 s61, 0
	s_cbranch_scc1 .LBB11_6
; %bb.4:                                ;   in Loop: Header=BB11_3 Depth=1
	s_trap 2
	s_waitcnt lgkmcnt(0)
	ds_read_b32 v1, v0
	s_waitcnt lgkmcnt(0)
	v_xor_b32_e32 v1, v1, v0
	v_and_b32_e32 v1, 0xff0000, v1
	v_cmp_eq_u32_e32 vcc, 0, v1
	s_cbranch_vccnz .LBB11_6
; %bb.5:                                ;   in Loop: Header=BB11_3 Depth=1
	s_barrier
	ds_read_b32 v0, v0
.LBB11_6:                               ;   in Loop: Header=BB11_3 Depth=1
	s_waitcnt lgkmcnt(0)
	v_lshlrev_b32_sdwa v1, v42, v0 dst_sel:DWORD dst_unused:UNUSED_PAD src0_sel:DWORD src1_sel:BYTE_2
	v_cmp_lt_u32_e32 vcc, v41, v1
	s_and_saveexec_b64 s[64:65], vcc
	s_cbranch_execz .LBB11_2
; %bb.7:                                ;   in Loop: Header=BB11_3 Depth=1
	s_mov_b64 s[8:9], s[58:59]
	s_mov_b32 s12, s60
	v_mov_b32_e32 v31, v40
	v_mov_b32_e32 v0, v41
	;; [unrolled: 1-line block ×3, first 2 shown]
	s_getpc_b64 s[0:1]
	s_add_u32 s0, s0, _ZN12_GLOBAL__N_17runRingIa7FuncSumIaE7ProtoLLLi0ELi4ELi0EEEviiP15ncclDevWorkColl@rel32@lo+4
	s_addc_u32 s1, s1, _ZN12_GLOBAL__N_17runRingIa7FuncSumIaE7ProtoLLLi0ELi4ELi0EEEviiP15ncclDevWorkColl@rel32@hi+12
	s_swappc_b64 s[30:31], s[0:1]
	s_branch .LBB11_2
.LBB11_8:
	scratch_load_dword v63, off, s33        ; 4-byte Folded Reload
	scratch_load_dword v42, off, s33 offset:4 ; 4-byte Folded Reload
	scratch_load_dword v41, off, s33 offset:8 ; 4-byte Folded Reload
	;; [unrolled: 1-line block ×3, first 2 shown]
	v_readlane_b32 s30, v43, 32
	v_readlane_b32 s31, v43, 33
	;; [unrolled: 1-line block ×35, first 2 shown]
	s_or_saveexec_b64 s[2:3], -1
	scratch_load_dword v43, off, s33 offset:16 ; 4-byte Folded Reload
	s_mov_b64 exec, s[2:3]
	s_addk_i32 s32, 0xffe0
	s_mov_b32 s33, s0
	s_waitcnt vmcnt(0)
	s_setpc_b64 s[30:31]
.Lfunc_end11:
	.size	_Z42ncclDevFunc_Broadcast_RING_LL_Sum_i8_0_0_4v, .Lfunc_end11-_Z42ncclDevFunc_Broadcast_RING_LL_Sum_i8_0_0_4v
                                        ; -- End function
	.section	.AMDGPU.csdata,"",@progbits
; Function info:
; codeLenInByte = 928
; NumSgprs: 72
; NumVgprs: 64
; NumAgprs: 32
; TotalNumVgprs: 96
; ScratchSize: 72
; MemoryBound: 0
	.text
	.p2align	2                               ; -- Begin function _ZN12_GLOBAL__N_17runRingIa7FuncSumIaE11ProtoSimpleILi1ELi1ELi0ELi4ELi0ELi0EELi0ELi4ELi0EEEviiP15ncclDevWorkColl
	.type	_ZN12_GLOBAL__N_17runRingIa7FuncSumIaE11ProtoSimpleILi1ELi1ELi0ELi4ELi0ELi0EELi0ELi4ELi0EEEviiP15ncclDevWorkColl,@function
_ZN12_GLOBAL__N_17runRingIa7FuncSumIaE11ProtoSimpleILi1ELi1ELi0ELi4ELi0ELi0EELi0ELi4ELi0EEEviiP15ncclDevWorkColl: ; @_ZN12_GLOBAL__N_17runRingIa7FuncSumIaE11ProtoSimpleILi1ELi1ELi0ELi4ELi0ELi0EELi0ELi4ELi0EEEviiP15ncclDevWorkColl
; %bb.0:
	s_waitcnt vmcnt(0) expcnt(0) lgkmcnt(0)
	s_mov_b32 s0, s33
	s_mov_b32 s33, s32
	s_or_saveexec_b64 s[2:3], -1
	scratch_store_dword off, v63, s33 offset:144 ; 4-byte Folded Spill
	s_mov_b64 exec, s[2:3]
	v_writelane_b32 v63, s0, 54
	s_addk_i32 s32, 0xa0
	scratch_store_dword off, v40, s33 offset:132 ; 4-byte Folded Spill
	scratch_store_dword off, v41, s33 offset:128 ; 4-byte Folded Spill
	;; [unrolled: 1-line block ×33, first 2 shown]
	scratch_store_dword off, a50, s33       ; 4-byte Folded Spill
	v_writelane_b32 v63, s34, 0
	v_writelane_b32 v63, s35, 1
	;; [unrolled: 1-line block ×53, first 2 shown]
	s_nop 1
	v_writelane_b32 v63, s31, 53
	s_trap 2
	ds_read_b64 v[4:5], v0
	flat_load_ushort v9, v[2:3] offset:8
	flat_load_dwordx2 v[16:17], v[2:3]
	ds_read_b32 v6, v0
	v_mov_b32_e32 v44, v0
                                        ; implicit-def: $vgpr36_vgpr37
                                        ; implicit-def: $vgpr52_vgpr53
                                        ; implicit-def: $agpr44_agpr45
	s_waitcnt lgkmcnt(0)
	flat_load_dwordx2 v[34:35], v[4:5]
	s_waitcnt vmcnt(0)
	v_mov_b32_e32 v8, v17
	v_cmp_ne_u32_sdwa s[0:1], v16, v6 src0_sel:BYTE_0 src1_sel:DWORD
	s_and_saveexec_b64 s[2:3], s[0:1]
	s_xor_b64 s[0:1], exec, s[2:3]
	s_cbranch_execz .LBB12_6
; %bb.1:
	v_not_b32_sdwa v0, v16 dst_sel:DWORD dst_unused:UNUSED_PAD src0_sel:BYTE_0
	v_cmp_ne_u32_sdwa s[2:3], v16, v6 src0_sel:BYTE_1 src1_sel:DWORD
                                        ; implicit-def: $vgpr36_vgpr37
                                        ; implicit-def: $vgpr52_vgpr53
                                        ; implicit-def: $agpr44_agpr45
	s_and_saveexec_b64 s[4:5], s[2:3]
	s_xor_b64 s[2:3], exec, s[4:5]
	s_cbranch_execz .LBB12_3
; %bb.2:
	flat_load_dwordx4 v[10:13], v[2:3] offset:72
	flat_load_dwordx2 v[4:5], v[2:3] offset:96
	v_add_u32_e32 v0, v6, v0
	v_ashrrev_i32_e32 v6, 31, v0
	s_waitcnt vmcnt(0) lgkmcnt(0)
	v_mul_lo_u32 v6, v12, v6
	v_mad_u64_u32 v[10:11], s[4:5], v12, v0, v[10:11]
	v_mul_lo_u32 v0, v13, v0
	v_add3_u32 v11, v0, v11, v6
	v_accvgpr_write_b32 a45, v11
	v_lshrrev_b64 v[36:37], 21, v[4:5]
	v_accvgpr_write_b32 a44, v10
	v_mov_b64_e32 v[52:53], v[12:13]
                                        ; implicit-def: $vgpr0
.LBB12_3:
	s_andn2_saveexec_b64 s[2:3], s[2:3]
	s_cbranch_execz .LBB12_5
; %bb.4:
	flat_load_dwordx4 v[10:13], v[2:3] offset:72
	flat_load_dwordx4 v[52:55], v[2:3] offset:88
	v_add_u32_sdwa v0, v16, v0 dst_sel:DWORD dst_unused:UNUSED_PAD src0_sel:BYTE_1 src1_sel:DWORD
	v_ashrrev_i32_e32 v4, 31, v0
	s_waitcnt vmcnt(0) lgkmcnt(0)
	v_mul_lo_u32 v4, v12, v4
	v_mad_u64_u32 v[6:7], s[4:5], v12, v0, v[10:11]
	v_mul_lo_u32 v0, v13, v0
	v_add3_u32 v7, v0, v7, v4
	v_accvgpr_write_b32 a45, v7
	v_accvgpr_write_b32 a44, v6
	v_lshrrev_b32_e32 v36, 10, v55
.LBB12_5:
	s_or_b64 exec, exec, s[2:3]
.LBB12_6:
	s_andn2_saveexec_b64 s[0:1], s[0:1]
	s_cbranch_execz .LBB12_8
; %bb.7:
	flat_load_dwordx2 v[52:53], v[2:3] offset:72
	flat_load_dwordx2 v[36:37], v[2:3] offset:96
	v_mov_b64_e32 v[4:5], 0
	v_accvgpr_write_b32 a45, v5
	v_accvgpr_write_b32 a44, v4
.LBB12_8:
	s_or_b64 exec, exec, s[0:1]
	flat_load_dwordx4 v[10:13], v[2:3] offset:16
	s_brev_b32 s0, 34
	v_and_b32_e32 v0, 0x44000000, v16
	v_cmp_eq_u32_e64 s[16:17], s0, v0
	v_bfe_u32 v22, v8, 1, 30
	s_nop 0
	v_cndmask_b32_e64 v18, v1, 64, s[16:17]
	v_cmp_ge_i32_e32 vcc, v44, v18
	s_and_saveexec_b64 s[0:1], vcc
	s_xor_b64 s[2:3], exec, s[0:1]
	s_cbranch_execz .LBB12_40
; %bb.9:
	s_waitcnt vmcnt(0) lgkmcnt(0)
	v_cmp_ne_u64_e32 vcc, v[12:13], v[10:11]
	v_cmp_eq_u32_e64 s[0:1], v34, v22
	s_and_b64 s[0:1], vcc, s[0:1]
	s_and_saveexec_b64 s[4:5], s[0:1]
	s_cbranch_execz .LBB12_39
; %bb.10:
	v_sub_u32_e32 v27, v44, v18
	v_ashrrev_i32_e32 v0, 31, v27
	v_accvgpr_read_b32 v4, a44
	v_lshrrev_b32_e32 v0, 26, v0
	v_accvgpr_read_b32 v5, a45
	v_add_u32_e32 v0, v27, v0
	v_lshl_add_u64 v[2:3], v[12:13], 0, v[4:5]
	v_lshl_add_u64 v[8:9], v[10:11], 0, v[4:5]
	v_and_b32_e32 v4, 0xffffffc0, v0
	v_sub_u32_e32 v22, v27, v4
	v_cmp_gt_i32_e32 vcc, 1, v22
	v_mov_b32_e32 v6, 0
	s_and_saveexec_b64 s[0:1], vcc
; %bb.11:
	v_or_b32_e32 v4, v2, v8
	v_and_b32_e32 v4, 15, v4
	v_cmp_ne_u32_e32 vcc, 0, v4
	s_nop 1
	v_cndmask_b32_e64 v6, 0, 1, vcc
; %bb.12:
	s_or_b64 exec, exec, s[0:1]
	v_ashrrev_i32_e32 v28, 6, v0
	v_sub_u32_e32 v26, v1, v18
	;;#ASMSTART
	;;#ASMEND
	s_nop 0
	v_cmp_ne_u32_e32 vcc, 0, v6
	s_cbranch_vccz .LBB12_14
; %bb.13:
	s_mov_b64 s[6:7], -1
	v_mov_b64_e32 v[0:1], 0
	s_and_b64 exec, exec, s[6:7]
	s_cbranch_execnz .LBB12_31
	s_branch .LBB12_39
.LBB12_14:
	v_ashrrev_i32_e32 v0, 31, v53
	v_lshrrev_b32_e32 v0, 19, v0
	v_mov_b32_e32 v1, 0
	v_lshl_add_u64 v[0:1], v[52:53], 0, v[0:1]
	v_ashrrev_i64 v[0:1], 13, v[0:1]
	v_ashrrev_i32_e32 v4, 31, v28
	v_sub_co_u32_e32 v6, vcc, v0, v28
	s_mov_b64 s[10:11], 0
	s_nop 0
	v_subb_co_u32_e32 v7, vcc, v1, v4, vcc
	v_cmp_lt_i64_e32 vcc, 0, v[6:7]
	s_and_saveexec_b64 s[6:7], vcc
	s_cbranch_execz .LBB12_18
; %bb.15:
	v_lshlrev_b32_e32 v4, 4, v22
	v_lshl_add_u32 v16, v28, 13, v4
	v_ashrrev_i32_e32 v4, 31, v26
	v_lshrrev_b32_e32 v4, 26, v4
	v_add_u32_e32 v4, v26, v4
	v_ashrrev_i32_e32 v18, 6, v4
	v_mov_b32_e32 v4, 0xffffe000
	v_lshl_add_u32 v4, v18, 13, v4
	v_accvgpr_write_b32 a0, v52
	v_accvgpr_read_b32 v24, a44
	v_ashrrev_i32_e32 v5, 31, v4
	s_mov_b64 s[0:1], 0x2000
	v_accvgpr_write_b32 a1, v53
	v_accvgpr_read_b32 v25, a45
	v_ashrrev_i32_e32 v17, 31, v16
	v_ashrrev_i32_e32 v19, 31, v18
	v_lshl_add_u64 v[20:21], v[4:5], 0, s[0:1]
.LBB12_16:                              ; =>This Inner Loop Header: Depth=1
	v_lshl_add_u64 v[4:5], v[16:17], 0, v[2:3]
	global_load_dwordx4 v[28:31], v[4:5], off nt
	global_load_dwordx4 v[32:35], v[4:5], off offset:1024 nt
	global_load_dwordx4 v[36:39], v[4:5], off offset:2048 nt
	;; [unrolled: 1-line block ×3, first 2 shown]
	v_add_co_u32_e32 v4, vcc, 0x1000, v4
	v_lshl_add_u64 v[2:3], v[2:3], 0, v[20:21]
	s_nop 0
	v_addc_co_u32_e32 v5, vcc, 0, v5, vcc
	global_load_dwordx4 v[52:55], v[4:5], off nt
	global_load_dwordx4 v[40:43], v[4:5], off offset:1024 nt
	global_load_dwordx4 v[44:47], v[4:5], off offset:2048 nt
	;; [unrolled: 1-line block ×3, first 2 shown]
	v_sub_co_u32_e32 v6, vcc, v6, v18
	v_lshl_add_u64 v[4:5], v[16:17], 0, v[8:9]
	s_nop 0
	v_subb_co_u32_e32 v7, vcc, v7, v19, vcc
	v_cmp_gt_i64_e64 s[0:1], 1, v[6:7]
	v_lshl_add_u64 v[8:9], v[8:9], 0, v[20:21]
	v_add_co_u32_e32 v14, vcc, 0x1000, v4
	s_or_b64 s[10:11], s[0:1], s[10:11]
	s_nop 0
	v_addc_co_u32_e32 v15, vcc, 0, v5, vcc
	s_waitcnt vmcnt(7)
	global_store_dwordx4 v[4:5], v[28:31], off nt
	s_waitcnt vmcnt(7)
	global_store_dwordx4 v[4:5], v[32:35], off offset:1024 nt
	s_waitcnt vmcnt(7)
	global_store_dwordx4 v[4:5], v[36:39], off offset:2048 nt
	;; [unrolled: 2-line block ×3, first 2 shown]
	s_waitcnt vmcnt(7)
	global_store_dwordx4 v[14:15], v[52:55], off nt
	s_waitcnt vmcnt(7)
	global_store_dwordx4 v[14:15], v[40:43], off offset:1024 nt
	s_waitcnt vmcnt(7)
	global_store_dwordx4 v[14:15], v[44:47], off offset:2048 nt
	;; [unrolled: 2-line block ×3, first 2 shown]
	s_andn2_b64 exec, exec, s[10:11]
	s_cbranch_execnz .LBB12_16
; %bb.17:
	s_or_b64 exec, exec, s[10:11]
	v_accvgpr_write_b32 a45, v25
	v_accvgpr_read_b32 v53, a1
	v_accvgpr_write_b32 a44, v24
	v_accvgpr_read_b32 v52, a0
.LBB12_18:
	s_or_b64 exec, exec, s[6:7]
	v_lshlrev_b64 v[16:17], 13, v[0:1]
	v_cmp_ne_u64_e32 vcc, v[52:53], v[16:17]
	s_mov_b64 s[6:7], 0
	v_mov_b64_e32 v[0:1], 0
                                        ; implicit-def: $vgpr27
                                        ; implicit-def: $vgpr28
	s_and_saveexec_b64 s[0:1], vcc
	s_cbranch_execz .LBB12_30
; %bb.19:
	v_sub_co_u32_e32 v0, vcc, v52, v16
	v_mov_b32_e32 v21, 0
	s_nop 0
	v_subb_co_u32_e32 v1, vcc, v53, v17, vcc
	v_ashrrev_i32_e32 v2, 31, v1
	v_lshrrev_b32_e32 v20, 22, v2
	v_lshl_add_u64 v[2:3], v[0:1], 0, v[20:21]
	v_ashrrev_i64 v[18:19], 10, v[2:3]
	v_and_b32_e32 v2, 0xfffffc00, v2
	v_lshl_add_u64 v[8:9], v[2:3], 0, v[16:17]
	v_sub_co_u32_e32 v2, vcc, v0, v2
	s_nop 1
	v_subb_co_u32_e32 v3, vcc, v1, v3, vcc
	v_cmp_lt_i64_e32 vcc, 15, v[2:3]
	s_and_saveexec_b64 s[6:7], vcc
; %bb.20:
	v_and_b32_e32 v20, 15, v52
	v_sub_co_u32_e32 v2, vcc, v2, v20
	v_lshl_add_u64 v[18:19], v[18:19], 0, 1
	s_nop 0
	v_subbrev_co_u32_e32 v3, vcc, 0, v3, vcc
	v_lshl_add_u64 v[8:9], v[2:3], 0, v[8:9]
	v_mov_b64_e32 v[2:3], v[20:21]
; %bb.21:
	s_or_b64 exec, exec, s[6:7]
	v_lshlrev_b32_e32 v4, 6, v6
	v_sub_u32_e32 v4, v22, v4
	v_ashrrev_i32_e32 v5, 31, v4
	v_lshrrev_b32_e32 v5, 26, v5
	v_add_u32_e32 v5, v4, v5
	v_ashrrev_i32_e32 v6, 6, v5
	v_and_b32_e32 v5, 0xffffffc0, v5
	v_sub_u32_e32 v14, v4, v5
	v_lshlrev_b32_e32 v4, 4, v14
	v_lshl_add_u32 v22, v6, 10, v4
	v_ashrrev_i32_e32 v23, 31, v22
	v_sub_co_u32_e32 v0, vcc, v0, v22
	v_ashrrev_i32_e32 v5, 31, v6
	s_nop 0
	v_subb_co_u32_e32 v1, vcc, v1, v23, vcc
	v_sub_co_u32_e32 v4, vcc, v18, v6
	s_nop 1
	v_subb_co_u32_e32 v5, vcc, v19, v5, vcc
	v_cmp_lt_i64_e32 vcc, 15, v[0:1]
	s_and_saveexec_b64 s[6:7], vcc
	s_cbranch_execz .LBB12_25
; %bb.22:
	v_ashrrev_i32_e32 v6, 31, v26
	v_lshrrev_b32_e32 v6, 26, v6
	v_add_u32_e32 v6, v26, v6
	v_ashrrev_i32_e32 v6, 6, v6
	v_lshlrev_b32_e32 v18, 10, v6
	v_accvgpr_read_b32 v24, a44
	v_add_u32_e32 v20, 0xfffffc00, v18
	v_accvgpr_read_b32 v25, a45
	v_ashrrev_i32_e32 v21, 31, v20
	s_mov_b64 s[10:11], 0x400
	v_lshl_add_u64 v[16:17], v[24:25], 0, v[16:17]
	v_lshl_add_u64 v[20:21], v[20:21], 0, s[10:11]
	v_ashrrev_i32_e32 v7, 31, v18
	v_ashrrev_i32_e32 v19, 31, v6
	v_lshl_add_u64 v[16:17], v[16:17], 0, v[22:23]
	s_mov_b64 s[10:11], 0
.LBB12_23:                              ; =>This Inner Loop Header: Depth=1
	v_lshl_add_u64 v[22:23], v[12:13], 0, v[16:17]
	global_load_dwordx4 v[22:25], v[22:23], off nt
	v_sub_co_u32_e32 v0, vcc, v0, v18
	v_lshl_add_u64 v[28:29], v[10:11], 0, v[16:17]
	s_nop 0
	v_subb_co_u32_e32 v1, vcc, v1, v7, vcc
	v_sub_co_u32_e32 v4, vcc, v4, v6
	v_lshl_add_u64 v[16:17], v[16:17], 0, v[20:21]
	s_nop 0
	v_subb_co_u32_e32 v5, vcc, v5, v19, vcc
	v_cmp_gt_i64_e32 vcc, 16, v[0:1]
	s_or_b64 s[10:11], vcc, s[10:11]
	s_waitcnt vmcnt(0)
	global_store_dwordx4 v[28:29], v[22:25], off nt
	s_andn2_b64 exec, exec, s[10:11]
	s_cbranch_execnz .LBB12_23
; %bb.24:
	s_or_b64 exec, exec, s[10:11]
.LBB12_25:
	s_or_b64 exec, exec, s[6:7]
	s_mov_b64 s[6:7], 0
	v_cmp_lt_i64_e32 vcc, 0, v[4:5]
	s_and_saveexec_b64 s[10:11], vcc
; %bb.26:
	v_ashrrev_i32_e32 v0, 31, v26
	v_lshrrev_b32_e32 v0, 26, v0
	v_add_u32_e32 v0, v26, v0
	v_ashrrev_i32_e32 v0, 6, v0
	v_sub_co_u32_e32 v4, vcc, v4, v0
; %bb.27:
	s_or_b64 exec, exec, s[10:11]
	v_cmp_ne_u64_e32 vcc, 0, v[2:3]
	v_mov_b64_e32 v[0:1], 0
                                        ; implicit-def: $vgpr27
                                        ; implicit-def: $vgpr28
	s_and_saveexec_b64 s[10:11], vcc
; %bb.28:
	v_lshlrev_b32_e32 v0, 6, v4
	v_sub_u32_e32 v27, v14, v0
	v_ashrrev_i32_e32 v0, 31, v27
	v_lshrrev_b32_e32 v0, 26, v0
	v_add_u32_e32 v0, v27, v0
	s_mov_b64 s[6:7], exec
	v_ashrrev_i32_e32 v28, 6, v0
	v_mov_b64_e32 v[0:1], v[8:9]
; %bb.29:
	s_or_b64 exec, exec, s[10:11]
	s_and_b64 s[6:7], s[6:7], exec
	v_mov_b64_e32 v[52:53], v[2:3]
.LBB12_30:
	s_or_b64 exec, exec, s[0:1]
	s_and_b64 exec, exec, s[6:7]
	s_cbranch_execz .LBB12_39
.LBB12_31:
	v_ashrrev_i32_e32 v2, 31, v53
	v_lshrrev_b32_e32 v2, 21, v2
	v_mov_b32_e32 v3, 0
	v_lshl_add_u64 v[2:3], v[52:53], 0, v[2:3]
	v_ashrrev_i64 v[6:7], 11, v[2:3]
	v_ashrrev_i32_e32 v3, 31, v28
	v_sub_co_u32_e32 v2, vcc, v6, v28
	s_mov_b64 s[6:7], 0
	s_nop 0
	v_subb_co_u32_e32 v3, vcc, v7, v3, vcc
	v_cmp_lt_i64_e32 vcc, 0, v[2:3]
	s_and_saveexec_b64 s[0:1], vcc
	s_cbranch_execz .LBB12_35
; %bb.32:
	v_ashrrev_i32_e32 v4, 31, v27
	v_lshrrev_b32_e32 v4, 26, v4
	v_add_u32_e32 v4, v27, v4
	v_and_b32_e32 v4, 0xffffffc0, v4
	v_sub_u32_e32 v4, v27, v4
	v_lshl_add_u32 v8, v28, 11, v4
	v_ashrrev_i32_e32 v4, 31, v26
	v_lshrrev_b32_e32 v4, 26, v4
	v_add_u32_e32 v4, v26, v4
	v_ashrrev_i32_e32 v16, 6, v4
	v_mov_b32_e32 v4, 0xfffff800
	v_lshl_add_u32 v4, v16, 11, v4
	v_ashrrev_i32_e32 v5, 31, v4
	s_mov_b64 s[10:11], 0x800
	v_lshl_add_u64 v[18:19], v[4:5], 0, s[10:11]
	v_accvgpr_read_b32 v4, a44
	v_accvgpr_read_b32 v5, a45
	v_accvgpr_write_b32 a2, v52
	v_accvgpr_mov_b32 a0, a44
	v_lshl_add_u64 v[4:5], v[4:5], 0, v[0:1]
	v_accvgpr_write_b32 a3, v53
	v_ashrrev_i32_e32 v9, 31, v8
	v_ashrrev_i32_e32 v17, 31, v16
	v_accvgpr_mov_b32 a1, a45
	v_lshl_add_u64 v[20:21], v[4:5], 0, v[12:13]
	v_lshl_add_u64 v[22:23], v[4:5], 0, v[10:11]
.LBB12_33:                              ; =>This Inner Loop Header: Depth=1
	v_lshl_add_u64 v[4:5], v[8:9], 0, v[20:21]
	flat_load_ubyte v14, v[4:5] nt
	flat_load_ubyte v15, v[4:5] offset:64 nt
	flat_load_ubyte v29, v[4:5] offset:128 nt
	;; [unrolled: 1-line block ×30, first 2 shown]
	s_nop 0
	flat_load_ubyte v4, v[4:5] offset:1984 nt
	v_sub_co_u32_e32 v2, vcc, v2, v16
	v_lshl_add_u64 v[24:25], v[8:9], 0, v[22:23]
	s_nop 0
	v_subb_co_u32_e32 v3, vcc, v3, v17, vcc
	v_cmp_gt_i64_e32 vcc, 1, v[2:3]
	v_lshl_add_u64 v[20:21], v[20:21], 0, v[18:19]
	v_lshl_add_u64 v[22:23], v[22:23], 0, v[18:19]
	s_or_b64 s[6:7], vcc, s[6:7]
	s_waitcnt vmcnt(0) lgkmcnt(0)
	flat_store_byte v[24:25], v14 nt
	flat_store_byte v[24:25], v15 offset:64 nt
	flat_store_byte v[24:25], v29 offset:128 nt
	;; [unrolled: 1-line block ×31, first 2 shown]
	s_andn2_b64 exec, exec, s[6:7]
	s_cbranch_execnz .LBB12_33
; %bb.34:
	s_or_b64 exec, exec, s[6:7]
	v_accvgpr_mov_b32 a45, a1
	v_accvgpr_read_b32 v53, a3
	v_accvgpr_mov_b32 a44, a0
	v_accvgpr_read_b32 v52, a2
.LBB12_35:
	s_or_b64 exec, exec, s[0:1]
	v_lshlrev_b64 v[6:7], 11, v[6:7]
	v_cmp_ne_u64_e32 vcc, v[52:53], v[6:7]
	s_and_b64 exec, exec, vcc
	s_cbranch_execz .LBB12_39
; %bb.36:
	v_lshlrev_b32_e32 v3, 6, v28
	v_sub_u32_e32 v3, v27, v3
	v_lshlrev_b32_e32 v2, 6, v2
	v_sub_u32_e32 v16, v3, v2
	v_ashrrev_i32_e32 v17, 31, v16
	v_lshl_add_u64 v[2:3], v[6:7], 0, v[16:17]
	v_sub_co_u32_e32 v2, vcc, v52, v2
	s_mov_b64 s[0:1], 0
	s_nop 0
	v_subb_co_u32_e32 v3, vcc, v53, v3, vcc
	v_cmp_lt_i64_e32 vcc, 0, v[2:3]
	s_and_b64 exec, exec, vcc
	s_cbranch_execz .LBB12_39
; %bb.37:
	v_ashrrev_i32_e32 v4, 31, v26
	v_lshrrev_b32_e32 v4, 26, v4
	v_add_u32_e32 v4, v26, v4
	v_accvgpr_read_b32 v14, a44
	v_and_b32_e32 v4, 0xffffffc0, v4
	v_accvgpr_read_b32 v15, a45
	v_subrev_u32_e32 v8, 64, v4
	v_lshl_add_u64 v[0:1], v[14:15], 0, v[0:1]
	v_ashrrev_i32_e32 v9, 31, v8
	v_lshl_add_u64 v[0:1], v[0:1], 0, v[6:7]
	v_lshl_add_u64 v[8:9], v[8:9], 0, 64
	v_ashrrev_i32_e32 v5, 31, v4
	v_lshl_add_u64 v[0:1], v[0:1], 0, v[16:17]
.LBB12_38:                              ; =>This Inner Loop Header: Depth=1
	v_lshl_add_u64 v[6:7], v[12:13], 0, v[0:1]
	flat_load_ubyte v14, v[6:7] nt
	v_sub_co_u32_e32 v2, vcc, v2, v4
	v_lshl_add_u64 v[6:7], v[10:11], 0, v[0:1]
	s_nop 0
	v_subb_co_u32_e32 v3, vcc, v3, v5, vcc
	v_cmp_gt_i64_e32 vcc, 1, v[2:3]
	v_lshl_add_u64 v[0:1], v[0:1], 0, v[8:9]
	s_or_b64 s[0:1], vcc, s[0:1]
	s_waitcnt vmcnt(0) lgkmcnt(0)
	flat_store_byte v[6:7], v14 nt
	s_andn2_b64 exec, exec, s[0:1]
	s_cbranch_execnz .LBB12_38
.LBB12_39:
	s_or_b64 exec, exec, s[4:5]
                                        ; implicit-def: $vgpr34_vgpr35
                                        ; implicit-def: $agpr44_agpr45
                                        ; implicit-def: $vgpr52_vgpr53
                                        ; implicit-def: $vgpr36_vgpr37
                                        ; implicit-def: $vgpr22
                                        ; implicit-def: $vgpr18
                                        ; implicit-def: $vgpr44
                                        ; implicit-def: $vgpr31
                                        ; implicit-def: $vgpr12_vgpr13
                                        ; implicit-def: $vgpr8_vgpr9
                                        ; implicit-def: $vgpr2_vgpr3
.LBB12_40:
	s_andn2_saveexec_b64 s[38:39], s[2:3]
	s_cbranch_execz .LBB12_1035
; %bb.41:
	s_trap 2
	ds_read_b64 v[0:1], v0
	s_waitcnt lgkmcnt(0)
	v_cmp_ne_u32_e32 vcc, -1, v0
	s_nop 1
	v_cndmask_b32_e64 v50, 0, 1, vcc
	v_cmp_ne_u32_e32 vcc, -1, v1
	s_nop 1
	v_addc_co_u32_e64 v0, s[0:1], 0, v50, vcc
	v_lshlrev_b32_e32 v1, 1, v0
	v_cmp_le_i32_e64 s[0:1], v1, v18
	s_and_saveexec_b64 s[2:3], s[0:1]
	s_xor_b64 s[40:41], exec, s[2:3]
	s_cbranch_execz .LBB12_1032
; %bb.42:
	flat_load_dwordx2 v[16:17], v[2:3] offset:104
	s_trap 2
	s_load_dword s0, s[8:9], 0x0
	v_mov_b32_e32 v1, 0
	v_mov_b32_e32 v62, 4
	s_waitcnt lgkmcnt(0)
	s_cmp_lt_u32 s12, s0
	s_cselect_b32 s0, 12, 18
	s_add_u32 s0, s8, s0
	s_addc_u32 s1, s9, 0
	global_load_ushort v19, v1, s[0:1]
	ds_read_b32 v1, v0
	v_cmp_ge_i32_e64 s[0:1], v44, v50
	s_waitcnt lgkmcnt(0)
	v_readfirstlane_b32 s18, v1
	s_and_saveexec_b64 s[2:3], s[0:1]
	s_cbranch_execz .LBB12_52
; %bb.43:
	v_cmp_le_u32_e64 s[0:1], v0, v44
                                        ; implicit-def: $vgpr62
	s_and_saveexec_b64 s[4:5], s[0:1]
	s_xor_b64 s[0:1], exec, s[4:5]
	s_cbranch_execz .LBB12_49
; %bb.44:
	v_cndmask_b32_e64 v1, 0, 1, vcc
	v_sub_u32_e32 v1, v18, v1
	v_cmp_ge_u32_e32 vcc, v44, v1
                                        ; implicit-def: $sgpr6
	s_and_saveexec_b64 s[4:5], vcc
	s_xor_b64 s[4:5], exec, s[4:5]
; %bb.45:
	s_mov_b32 s6, 16
                                        ; implicit-def: $vgpr0
; %bb.46:
	s_or_saveexec_b64 s[4:5], s[4:5]
	v_mov_b32_e32 v62, s6
	s_xor_b64 exec, exec, s[4:5]
; %bb.47:
	v_sub_u32_e32 v0, v18, v0
	v_cmp_ge_i32_e32 vcc, v44, v0
	s_nop 1
	v_cndmask_b32_e64 v0, 0, 1, vcc
	v_lshlrev_b32_e32 v62, 5, v0
; %bb.48:
	s_or_b64 exec, exec, s[4:5]
.LBB12_49:
	s_andn2_saveexec_b64 s[0:1], s[0:1]
; %bb.50:
	v_mov_b32_e32 v62, 8
; %bb.51:
	s_or_b64 exec, exec, s[0:1]
.LBB12_52:
	s_or_b64 exec, exec, s[2:3]
	v_and_b32_e32 v0, 36, v62
	v_cmp_ne_u32_e32 vcc, 0, v0
	v_mov_b32_e32 v28, -1
	s_and_saveexec_b64 s[0:1], vcc
	s_cbranch_execz .LBB12_54
; %bb.53:
	s_trap 2
	ds_read_b32 v28, v0
.LBB12_54:
	s_or_b64 exec, exec, s[0:1]
	v_and_b32_e32 v0, 24, v62
	v_cmp_ne_u32_e64 s[0:1], 0, v0
	s_and_saveexec_b64 s[2:3], s[0:1]
	s_cbranch_execz .LBB12_56
; %bb.55:
	s_trap 2
	s_waitcnt lgkmcnt(0)
	ds_read_b32 v28, v0
.LBB12_56:
	s_or_b64 exec, exec, s[2:3]
	v_lshrrev_b64 v[0:1], 31, v[8:9]
	v_mov_b64_e32 v[24:25], 0
	v_and_b32_e32 v0, 3, v0
	s_waitcnt lgkmcnt(0)
	v_ashrrev_i32_e32 v29, 31, v28
	v_mov_b64_e32 v[6:7], v[24:25]
                                        ; implicit-def: $agpr8_agpr9
                                        ; implicit-def: $vgpr38
                                        ; implicit-def: $vgpr54_vgpr55
                                        ; implicit-def: $vgpr32_vgpr33
                                        ; implicit-def: $vgpr20_vgpr21
	s_and_saveexec_b64 s[0:1], vcc
	s_cbranch_execz .LBB12_66
; %bb.57:
	s_trap 2
	ds_read_b64 v[4:5], v0
	v_and_b32_e32 v1, 0xffff, v0
	s_movk_i32 s2, 0xa8
                                        ; implicit-def: $agpr8_agpr9
	s_waitcnt lgkmcnt(0)
	v_lshl_add_u64 v[4:5], v[28:29], 3, v[4:5]
	flat_load_dwordx2 v[4:5], v[4:5]
	s_waitcnt vmcnt(0) lgkmcnt(0)
	v_mad_u64_u32 v[4:5], s[2:3], v1, s2, v[4:5]
	flat_load_dword v1, v[4:5] offset:640
	s_mov_b64 s[2:3], 0x1f8
	v_lshl_add_u64 v[24:25], v[4:5], 0, s[2:3]
	s_waitcnt vmcnt(0) lgkmcnt(0)
	v_cmp_eq_u32_e32 vcc, 1, v1
	s_and_saveexec_b64 s[2:3], vcc
	s_cbranch_execz .LBB12_59
; %bb.58:
	flat_load_dwordx2 v[6:7], v[24:25] offset:144
	v_or_b32_e32 v62, 0x2000, v62
	s_waitcnt vmcnt(0) lgkmcnt(0)
	flat_load_dwordx2 v[4:5], v[6:7]
	s_trap 2
	v_accvgpr_write_b32 a9, v7
	v_accvgpr_write_b32 a8, v6
	s_waitcnt vmcnt(0) lgkmcnt(0)
	ds_write_b64 v0, v[4:5]
	flat_load_dwordx2 v[4:5], v[6:7] offset:8
	s_waitcnt vmcnt(0) lgkmcnt(0)
	ds_write_b64 v0, v[4:5]
	flat_load_dwordx2 v[4:5], v[6:7] offset:16
	s_waitcnt vmcnt(0) lgkmcnt(0)
	ds_write_b64 v0, v[4:5]
.LBB12_59:
	s_or_b64 exec, exec, s[2:3]
	flat_load_dwordx2 v[8:9], v[24:25] offset:104
	v_and_b32_e32 v1, 32, v62
	v_cmp_ne_u32_e32 vcc, 0, v1
                                        ; implicit-def: $vgpr20_vgpr21
	s_and_saveexec_b64 s[2:3], vcc
	s_cbranch_execz .LBB12_61
; %bb.60:
	flat_load_dwordx2 v[20:21], v[24:25] offset:56
	s_waitcnt vmcnt(0) lgkmcnt(0)
	flat_store_dwordx2 v[20:21], v[8:9] sc0 sc1
.LBB12_61:
	s_or_b64 exec, exec, s[2:3]
	v_and_b32_e32 v1, 4, v62
	v_cmp_ne_u32_e32 vcc, 0, v1
	v_mov_b64_e32 v[6:7], 0
                                        ; implicit-def: $vgpr38
                                        ; implicit-def: $vgpr54_vgpr55
                                        ; implicit-def: $vgpr32_vgpr33
	s_and_saveexec_b64 s[2:3], vcc
	s_cbranch_execz .LBB12_65
; %bb.62:
	v_and_b32_e32 v1, 0x800, v62
	v_cmp_eq_u32_e32 vcc, 0, v1
	s_and_saveexec_b64 s[4:5], vcc
	s_cbranch_execz .LBB12_64
; %bb.63:
	s_trap 2
	ds_write_b64 v0, v[24:25]
.LBB12_64:
	s_or_b64 exec, exec, s[4:5]
	flat_load_dwordx2 v[20:21], v[24:25] offset:48
	v_or_b32_e32 v1, 0x100, v62
	s_waitcnt vmcnt(0) lgkmcnt(0)
	flat_load_dwordx2 v[32:33], v[20:21] sc0 sc1
	flat_load_dwordx2 v[6:7], v[24:25] offset:96
	flat_load_dword v38, v[24:25] offset:72
	flat_load_dwordx2 v[54:55], v[24:25] offset:16
	s_waitcnt vmcnt(0) lgkmcnt(0)
	v_cmp_eq_u64_e32 vcc, 0, v[6:7]
	s_nop 1
	v_cndmask_b32_e32 v62, v1, v62, vcc
.LBB12_65:
	s_or_b64 exec, exec, s[2:3]
.LBB12_66:
	s_or_b64 exec, exec, s[0:1]
	v_and_b32_e32 v1, 24, v62
	v_cmp_ne_u32_e32 vcc, 0, v1
                                        ; implicit-def: $vgpr42_vgpr43
	s_and_saveexec_b64 s[0:1], vcc
	s_cbranch_execz .LBB12_74
; %bb.67:
	s_trap 2
	ds_read_b64 v[4:5], v0
	v_and_b32_e32 v0, 0xffff, v0
	s_movk_i32 s2, 0xa8
                                        ; implicit-def: $vgpr42_vgpr43
	s_waitcnt lgkmcnt(0)
	v_lshl_add_u64 v[4:5], v[28:29], 3, v[4:5]
	flat_load_dwordx2 v[4:5], v[4:5]
	s_waitcnt vmcnt(0) lgkmcnt(0)
	v_mad_u64_u32 v[24:25], s[2:3], v0, s2, v[4:5]
	flat_load_dwordx4 v[6:9], v[24:25] offset:96
	v_or_b32_e32 v0, 0x100, v62
	s_waitcnt vmcnt(0) lgkmcnt(0)
	v_cmp_eq_u64_e32 vcc, 0, v[6:7]
	s_nop 1
	v_cndmask_b32_e32 v62, v0, v62, vcc
	v_and_b32_e32 v0, 16, v62
	v_cmp_ne_u32_e32 vcc, 0, v0
	s_and_saveexec_b64 s[2:3], vcc
	s_cbranch_execz .LBB12_69
; %bb.68:
	flat_load_dwordx2 v[42:43], v[24:25] offset:120
	flat_load_dwordx2 v[20:21], v[24:25] offset:48
	;; [unrolled: 1-line block ×3, first 2 shown]
.LBB12_69:
	s_or_b64 exec, exec, s[2:3]
	v_and_b32_e32 v0, 8, v62
	v_cmp_ne_u32_e32 vcc, 0, v0
	s_and_saveexec_b64 s[2:3], vcc
	s_cbranch_execz .LBB12_73
; %bb.70:
	v_and_b32_e32 v0, 0x800, v62
	v_cmp_eq_u32_e32 vcc, 0, v0
	s_and_saveexec_b64 s[4:5], vcc
	s_cbranch_execz .LBB12_72
; %bb.71:
	s_trap 2
	ds_write_b64 v0, v[24:25]
.LBB12_72:
	s_or_b64 exec, exec, s[4:5]
	s_waitcnt vmcnt(0) lgkmcnt(0)
	flat_load_dwordx2 v[20:21], v[24:25] offset:56
	s_waitcnt vmcnt(0) lgkmcnt(0)
	flat_load_dwordx2 v[32:33], v[20:21] sc0 sc1
	flat_load_dword v38, v[24:25] offset:72
	flat_load_dwordx2 v[54:55], v[24:25] offset:16
.LBB12_73:
	s_or_b64 exec, exec, s[2:3]
.LBB12_74:
	s_or_b64 exec, exec, s[0:1]
	v_cmp_eq_u32_e64 s[0:1], 0, v44
	s_and_saveexec_b64 s[2:3], s[0:1]
	s_cbranch_execz .LBB12_76
; %bb.75:
	flat_load_dwordx2 v[0:1], v[2:3] offset:32
	s_waitcnt vmcnt(0)
	v_mov_b32_e32 v4, v12
	v_mov_b32_e32 v5, v13
	;; [unrolled: 1-line block ×4, first 2 shown]
	s_waitcnt lgkmcnt(0)
	ds_write2_b64 v0, v[4:5], v[14:15] offset1:1
	s_trap 2
	ds_write_b64 v0, v[0:1]
	ds_write_b64 v0, v[16:17]
.LBB12_76:
	s_or_b64 exec, exec, s[2:3]
	s_mov_b64 s[44:45], 0
	s_waitcnt vmcnt(0)
	v_cmp_ne_u64_e32 vcc, 0, v[52:53]
	v_mov_b64_e32 v[58:59], 0
	s_and_saveexec_b64 s[42:43], vcc
	s_cbranch_execz .LBB12_996
; %bb.77:
	flat_load_dword v0, v[2:3] offset:4
	v_cmp_ne_u32_e64 s[2:3], v34, v22
	v_cmp_eq_u32_e64 s[6:7], 64, v18
	v_cmp_ne_u32_e64 s[10:11], 64, v18
	v_cmp_ne_u32_sdwa s[46:47], v18, v19 src0_sel:DWORD src1_sel:WORD_0
	v_lshrrev_b32_e32 v34, 6, v18
	v_mov_b32_e32 v15, 0xfffff800
	v_accvgpr_write_b32 a1, v18
	v_and_b32_e32 v45, 0xffffffc0, v18
	v_mov_b32_e32 v18, 0xffffe000
	v_lshlrev_b32_e32 v1, 9, v36
	v_ashrrev_i32_e32 v5, 31, v44
	v_cmp_ne_u64_e32 vcc, v[12:13], v[10:11]
	v_lshl_add_u32 v10, v34, 11, v15
	v_lshl_add_u32 v12, v34, 13, v18
	v_accvgpr_write_b32 a10, v24
	s_mov_b64 s[22:23], 0x800
	s_mov_b64 s[24:25], 0x2000
	v_and_b32_e32 v26, 0x3ffffe00, v1
	v_lshrrev_b32_e32 v1, 26, v5
	v_ashrrev_i32_e32 v11, 31, v10
	v_ashrrev_i32_e32 v13, 31, v12
	v_accvgpr_write_b32 a11, v25
	v_cvt_f64_u32_e32 v[16:17], 0
	s_ashr_i32 s19, s18, 31
	s_waitcnt lgkmcnt(0)
	v_ashrrev_i32_e32 v3, 31, v38
	v_and_b32_e32 v4, 63, v31
	v_mov_b32_e32 v14, 0xfffff000
	v_subrev_u32_e32 v24, 64, v45
	v_add_u32_e32 v1, v44, v1
	v_lshl_add_u64 v[40:41], v[10:11], 0, s[22:23]
	v_lshl_add_u64 v[10:11], v[12:13], 0, s[24:25]
	v_accvgpr_write_b32 a21, v3
	s_xor_b64 s[26:27], s[16:17], -1
	v_ldexp_f64 v[2:3], v[16:17], 32
	s_lshr_b32 s19, s19, 24
	v_cmp_eq_u32_e64 s[16:17], 0, v4
	v_lshl_add_u32 v4, v34, 12, v14
	v_lshlrev_b32_e32 v28, 10, v34
	v_cvt_f64_u32_e32 v[14:15], v26
	v_ashrrev_i32_e32 v25, 31, v24
	v_ashrrev_i32_e32 v29, 6, v1
	v_and_b32_e32 v1, 0xffffffc0, v1
	v_accvgpr_write_b32 a37, v11
	s_mov_b64 s[20:21], 0x1000
	s_add_i32 s18, s18, s19
	v_ashrrev_i32_e32 v5, 31, v4
	v_add_u32_e32 v16, 0xfffffc00, v28
	v_add_f64 v[14:15], v[2:3], v[14:15]
	v_lshl_add_u64 v[2:3], v[24:25], 0, 64
	v_accvgpr_write_b32 a36, v10
	v_sub_u32_e32 v10, v44, v1
	v_lshlrev_b32_e32 v1, 12, v29
	s_mov_b64 s[48:49], 0x400
	s_ashr_i32 s84, s18, 8
	v_lshl_add_u64 v[4:5], v[4:5], 0, s[20:21]
	v_ashrrev_i32_e32 v17, 31, v16
	v_cmp_lt_i32_e64 s[18:19], v10, v50
	v_cmp_le_i32_e64 s[20:21], v10, v50
	v_mov_b64_e32 v[50:51], v[2:3]
	v_lshl_add_u32 v2, v10, 4, v1
	v_mov_b32_e32 v57, 0
	v_accvgpr_write_b32 a29, v17
	v_lshl_add_u64 v[46:47], v[16:17], 0, s[48:49]
	v_ashrrev_i32_e32 v3, 31, v2
	v_mov_b64_e32 v[36:37], 0
	v_mov_b32_e32 v27, v57
	v_accvgpr_write_b32 a28, v16
	v_accvgpr_write_b32 a43, v3
	v_add_u32_e32 v16, v2, v1
	v_accvgpr_mov_b32 a2, a44
	v_accvgpr_write_b32 a4, v52
	v_accvgpr_write_b32 a14, v54
	;; [unrolled: 1-line block ×9, first 2 shown]
	s_waitcnt vmcnt(0)
	v_and_b32_e32 v0, 1, v0
	v_cmp_eq_u32_e64 s[24:25], 1, v0
	v_cmp_ne_u32_e64 s[4:5], v35, v22
	v_accvgpr_write_b32 a7, v19
	v_accvgpr_write_b32 a0, v31
	s_movk_i32 s80, 0xffc0
	s_movk_i32 s81, 0xfc00
	v_cmp_eq_u64_e64 s[12:13], 0, v[42:43]
	v_cmp_ne_u64_e64 s[14:15], 0, v[42:43]
	s_movk_i32 s82, 0x270e
	s_movk_i32 s83, 0x108
	v_mov_b32_e32 v39, 1
	s_mov_b64 s[50:51], 0x7c0
	v_mov_b32_e32 v35, v57
	s_and_b64 s[52:53], s[26:27], vcc
	v_accvgpr_write_b32 a38, v10
	v_cmp_gt_i32_e64 s[22:23], 1, v10
	v_accvgpr_write_b32 a42, v2
	v_ashrrev_i32_e32 v17, 31, v16
	s_xor_b64 s[54:55], s[24:25], -1
	v_mov_b64_e32 v[58:59], v[36:37]
	v_accvgpr_mov_b32 a3, a45
	v_accvgpr_write_b32 a5, v53
	v_accvgpr_write_b32 a6, v44
	;; [unrolled: 1-line block ×14, first 2 shown]
	s_trap 2
	scratch_store_dwordx2 off, v[16:17], s33 offset:136 ; 8-byte Folded Spill
	s_branch .LBB12_79
.LBB12_78:                              ;   in Loop: Header=BB12_79 Depth=1
	s_or_b64 exec, exec, s[26:27]
	v_lshl_add_u64 v[36:37], v[36:37], 0, v[26:27]
	v_cmp_ge_u64_e32 vcc, v[36:37], v[52:53]
	s_or_b64 s[44:45], vcc, s[44:45]
	s_andn2_b64 exec, exec, s[44:45]
	s_cbranch_execz .LBB12_995
.LBB12_79:                              ; =>This Loop Header: Depth=1
                                        ;     Child Loop BB12_98 Depth 2
                                        ;     Child Loop BB12_133 Depth 2
	;; [unrolled: 1-line block ×9, first 2 shown]
                                        ;       Child Loop BB12_221 Depth 3
                                        ;     Child Loop BB12_231 Depth 2
                                        ;     Child Loop BB12_236 Depth 2
                                        ;       Child Loop BB12_237 Depth 3
                                        ;     Child Loop BB12_282 Depth 2
                                        ;     Child Loop BB12_389 Depth 2
	;; [unrolled: 1-line block ×26, first 2 shown]
                                        ;       Child Loop BB12_308 Depth 3
                                        ;     Child Loop BB12_318 Depth 2
                                        ;     Child Loop BB12_323 Depth 2
                                        ;       Child Loop BB12_324 Depth 3
                                        ;     Child Loop BB12_370 Depth 2
                                        ;     Child Loop BB12_408 Depth 2
	;; [unrolled: 1-line block ×17, first 2 shown]
	v_accvgpr_read_b32 v0, a44
	v_accvgpr_read_b32 v1, a45
	v_sub_co_u32_e32 v2, vcc, v52, v36
	v_lshl_add_u64 v[10:11], v[36:37], 0, v[0:1]
	s_nop 0
	v_subb_co_u32_e32 v0, vcc, v53, v37, vcc
	v_cvt_f64_u32_e32 v[0:1], v0
	v_ldexp_f64 v[0:1], v[0:1], 32
	v_cvt_f64_u32_e32 v[2:3], v2
	v_add_f64 v[0:1], v[0:1], v[2:3]
	v_max_f64 v[2:3], v[14:15], v[14:15]
	v_min_f64 v[0:1], v[2:3], v[0:1]
	v_cvt_i32_f64_e32 v0, v[0:1]
	v_max_i32_e32 v31, 0, v0
	v_add_u32_e32 v1, 15, v31
	v_ashrrev_i32_e32 v2, 31, v1
	v_lshrrev_b32_e32 v2, 28, v2
	v_add_u32_e32 v1, v1, v2
	v_and_b32_e32 v1, -16, v1
	v_max_i32_e32 v60, s84, v1
	v_cmp_gt_i32_e64 s[26:27], 1, v0
	v_cmp_lt_i32_e64 s[28:29], 0, v0
	s_mov_b64 s[56:57], 0
	s_and_saveexec_b64 vcc, s[2:3]
	s_xor_b64 s[58:59], exec, vcc
	s_cbranch_execz .LBB12_87
; %bb.80:                               ;   in Loop: Header=BB12_79 Depth=1
	s_mov_b64 s[34:35], 0
	s_and_saveexec_b64 vcc, s[4:5]
	s_xor_b64 s[56:57], exec, vcc
	s_cbranch_execz .LBB12_564
; %bb.81:                               ;   in Loop: Header=BB12_79 Depth=1
	v_mov_b32_e32 v1, 0
	s_and_saveexec_b64 s[60:61], s[28:29]
	s_cbranch_execz .LBB12_424
; %bb.82:                               ;   in Loop: Header=BB12_79 Depth=1
	s_and_saveexec_b64 s[30:31], s[0:1]
	s_cbranch_execz .LBB12_84
; %bb.83:                               ;   in Loop: Header=BB12_79 Depth=1
	s_trap 2
	ds_read_b128 v[0:3], v0
	s_waitcnt lgkmcnt(0)
	v_lshl_add_u64 v[0:1], v[0:1], 0, v[10:11]
	v_lshl_add_u64 v[4:5], v[2:3], 0, v[10:11]
	v_cmp_ne_u64_e32 vcc, 0, v[2:3]
	ds_write_b64 v0, v[0:1]
	s_nop 0
	v_cndmask_b32_e32 v1, 0, v5, vcc
	v_cndmask_b32_e32 v0, 0, v4, vcc
	v_accvgpr_read_b32 v4, a32
	v_accvgpr_read_b32 v5, a33
	ds_write_b64 v0, v[0:1]
.LBB12_84:                              ;   in Loop: Header=BB12_79 Depth=1
	s_or_b64 exec, exec, s[30:31]
	v_and_b32_e32 v0, 12, v62
	v_cmp_ne_u32_e32 vcc, 0, v0
	s_mov_b64 s[34:35], -1
	s_and_saveexec_b64 s[30:31], vcc
	s_cbranch_execz .LBB12_111
; %bb.85:                               ;   in Loop: Header=BB12_79 Depth=1
	v_and_b32_e32 v56, 8, v62
	v_lshl_add_u64 v[0:1], v[32:33], 0, v[56:57]
	v_lshl_add_u64 v[10:11], v[8:9], 0, 1
	v_cmp_lt_u64_e32 vcc, v[0:1], v[10:11]
	v_mov_b32_e32 v0, 1
	s_and_saveexec_b64 s[34:35], vcc
	s_cbranch_execz .LBB12_110
; %bb.86:                               ;   in Loop: Header=BB12_79 Depth=1
	s_mov_b64 s[36:37], 0
	v_mov_b32_e32 v0, 0
                                        ; implicit-def: $sgpr62_sgpr63
	s_branch .LBB12_98
.LBB12_87:                              ;   in Loop: Header=BB12_79 Depth=1
	s_andn2_saveexec_b64 s[58:59], s[58:59]
	s_cbranch_execz .LBB12_993
.LBB12_88:                              ;   in Loop: Header=BB12_79 Depth=1
	s_mov_b64 s[34:35], 0
	s_mov_b64 s[30:31], s[56:57]
	s_and_saveexec_b64 vcc, s[52:53]
	s_xor_b64 s[60:61], exec, vcc
	s_cbranch_execz .LBB12_613
; %bb.89:                               ;   in Loop: Header=BB12_79 Depth=1
	v_mov_b32_e32 v1, 0
	s_and_saveexec_b64 s[62:63], s[28:29]
	s_cbranch_execz .LBB12_476
; %bb.90:                               ;   in Loop: Header=BB12_79 Depth=1
	s_and_saveexec_b64 s[30:31], s[0:1]
	s_cbranch_execz .LBB12_92
; %bb.91:                               ;   in Loop: Header=BB12_79 Depth=1
	s_trap 2
	ds_read2_b64 v[0:3], v0 offset1:1
	s_waitcnt lgkmcnt(0)
	ds_read_b64 v[4:5], v0
	v_lshl_add_u64 v[0:1], v[0:1], 0, v[10:11]
	v_lshl_add_u64 v[2:3], v[2:3], 0, v[10:11]
	ds_write_b64 v0, v[0:1]
	ds_write_b64 v0, v[2:3]
	s_waitcnt lgkmcnt(0)
	v_lshl_add_u64 v[0:1], v[4:5], 0, v[10:11]
	v_cmp_ne_u64_e32 vcc, 0, v[4:5]
	v_accvgpr_read_b32 v4, a32
	v_accvgpr_read_b32 v5, a33
	v_cndmask_b32_e32 v1, 0, v1, vcc
	v_cndmask_b32_e32 v0, 0, v0, vcc
	ds_write_b64 v0, v[0:1]
.LBB12_92:                              ;   in Loop: Header=BB12_79 Depth=1
	s_or_b64 exec, exec, s[30:31]
	v_and_b32_e32 v0, 8, v62
	v_cmp_ne_u32_e32 vcc, 0, v0
	s_mov_b64 s[34:35], -1
	s_and_saveexec_b64 s[30:31], vcc
	s_cbranch_execz .LBB12_139
; %bb.93:                               ;   in Loop: Header=BB12_79 Depth=1
	v_lshl_add_u64 v[0:1], v[32:33], 0, 8
	v_lshl_add_u64 v[10:11], v[8:9], 0, 1
	v_cmp_lt_u64_e32 vcc, v[0:1], v[10:11]
	v_mov_b32_e32 v0, 1
	s_and_saveexec_b64 s[34:35], vcc
	s_cbranch_execz .LBB12_138
; %bb.94:                               ;   in Loop: Header=BB12_79 Depth=1
	s_mov_b64 s[36:37], 0
	v_mov_b32_e32 v0, 0
                                        ; implicit-def: $sgpr64_sgpr65
	s_branch .LBB12_105
.LBB12_95:                              ;   in Loop: Header=BB12_98 Depth=2
	s_or_b64 exec, exec, s[70:71]
	v_mov_b32_e32 v1, 0
	s_orn2_b64 s[68:69], s[68:69], exec
.LBB12_96:                              ;   in Loop: Header=BB12_98 Depth=2
	s_or_b64 exec, exec, s[66:67]
	s_andn2_b64 vcc, s[62:63], exec
	s_and_b64 s[62:63], s[68:69], exec
	s_or_b64 s[62:63], vcc, s[62:63]
	v_mov_b32_e32 v0, v1
.LBB12_97:                              ;   in Loop: Header=BB12_98 Depth=2
	s_or_b64 exec, exec, s[64:65]
	s_waitcnt vmcnt(0) lgkmcnt(0)
	v_lshl_add_u64 v[2:3], v[32:33], 0, v[56:57]
	v_cmp_ge_u64_e32 vcc, v[2:3], v[10:11]
	s_xor_b64 s[64:65], s[62:63], -1
	s_or_b64 vcc, s[64:65], vcc
	s_and_b64 vcc, exec, vcc
	s_or_b64 s[36:37], vcc, s[36:37]
	s_andn2_b64 exec, exec, s[36:37]
	s_cbranch_execz .LBB12_109
.LBB12_98:                              ;   Parent Loop BB12_79 Depth=1
                                        ; =>  This Inner Loop Header: Depth=2
	s_sleep 1
	flat_load_dwordx2 v[32:33], v[20:21] sc0 sc1
	v_and_b32_e32 v1, 64, v62
	v_cmp_eq_u32_e32 vcc, 0, v1
	s_andn2_b64 s[62:63], s[62:63], exec
	s_and_saveexec_b64 s[64:65], vcc
	s_cbranch_execz .LBB12_97
; %bb.99:                               ;   in Loop: Header=BB12_98 Depth=2
	v_add_u32_e32 v1, 1, v0
	v_cmp_lt_i32_e32 vcc, s82, v0
	s_mov_b64 s[68:69], -1
	s_and_saveexec_b64 s[66:67], vcc
	s_cbranch_execz .LBB12_96
; %bb.100:                              ;   in Loop: Header=BB12_98 Depth=2
	s_trap 2
	ds_read_b64 v[0:1], v0
	s_waitcnt vmcnt(0) lgkmcnt(0)
	flat_load_dword v0, v[0:1] sc0 sc1
	s_waitcnt vmcnt(0) lgkmcnt(0)
	buffer_inv sc0 sc1
	v_cmp_ne_u32_e32 vcc, 0, v0
	s_and_saveexec_b64 s[70:71], vcc
	s_cbranch_execz .LBB12_95
; %bb.101:                              ;   in Loop: Header=BB12_98 Depth=2
	v_or_b32_e32 v62, 64, v62
	s_xor_b64 s[68:69], exec, -1
	ds_write_b32 v0, v0
	s_trap 2
	s_branch .LBB12_95
.LBB12_102:                             ;   in Loop: Header=BB12_105 Depth=2
	s_or_b64 exec, exec, s[72:73]
	v_mov_b32_e32 v1, 0
	s_orn2_b64 s[70:71], s[70:71], exec
.LBB12_103:                             ;   in Loop: Header=BB12_105 Depth=2
	s_or_b64 exec, exec, s[68:69]
	s_andn2_b64 vcc, s[64:65], exec
	s_and_b64 s[64:65], s[70:71], exec
	s_or_b64 s[64:65], vcc, s[64:65]
	v_mov_b32_e32 v0, v1
.LBB12_104:                             ;   in Loop: Header=BB12_105 Depth=2
	s_or_b64 exec, exec, s[66:67]
	s_waitcnt vmcnt(0) lgkmcnt(0)
	v_lshl_add_u64 v[2:3], v[32:33], 0, 8
	v_cmp_ge_u64_e32 vcc, v[2:3], v[10:11]
	s_xor_b64 s[66:67], s[64:65], -1
	s_or_b64 vcc, s[66:67], vcc
	s_and_b64 vcc, exec, vcc
	s_or_b64 s[36:37], vcc, s[36:37]
	s_andn2_b64 exec, exec, s[36:37]
	s_cbranch_execz .LBB12_137
.LBB12_105:                             ;   Parent Loop BB12_79 Depth=1
                                        ; =>  This Inner Loop Header: Depth=2
	s_sleep 1
	flat_load_dwordx2 v[32:33], v[20:21] sc0 sc1
	v_and_b32_e32 v1, 64, v62
	v_cmp_eq_u32_e32 vcc, 0, v1
	s_andn2_b64 s[64:65], s[64:65], exec
	s_and_saveexec_b64 s[66:67], vcc
	s_cbranch_execz .LBB12_104
; %bb.106:                              ;   in Loop: Header=BB12_105 Depth=2
	v_add_u32_e32 v1, 1, v0
	v_cmp_lt_i32_e32 vcc, s82, v0
	s_mov_b64 s[70:71], -1
	s_and_saveexec_b64 s[68:69], vcc
	s_cbranch_execz .LBB12_103
; %bb.107:                              ;   in Loop: Header=BB12_105 Depth=2
	s_trap 2
	ds_read_b64 v[0:1], v0
	s_waitcnt vmcnt(0) lgkmcnt(0)
	flat_load_dword v0, v[0:1] sc0 sc1
	s_waitcnt vmcnt(0) lgkmcnt(0)
	buffer_inv sc0 sc1
	v_cmp_ne_u32_e32 vcc, 0, v0
	s_and_saveexec_b64 s[72:73], vcc
	s_cbranch_execz .LBB12_102
; %bb.108:                              ;   in Loop: Header=BB12_105 Depth=2
	v_or_b32_e32 v62, 64, v62
	s_xor_b64 s[70:71], exec, -1
	ds_write_b32 v0, v0
	s_trap 2
	s_branch .LBB12_102
.LBB12_109:                             ;   in Loop: Header=BB12_79 Depth=1
	s_or_b64 exec, exec, s[36:37]
	v_and_b32_e32 v0, 12, v62
.LBB12_110:                             ;   in Loop: Header=BB12_79 Depth=1
	s_or_b64 exec, exec, s[34:35]
	v_cmp_eq_u32_e32 vcc, 0, v0
	s_orn2_b64 s[34:35], vcc, exec
	;;#ASMSTART
	s_wakeup
	;;#ASMEND
.LBB12_111:                             ;   in Loop: Header=BB12_79 Depth=1
	s_or_b64 exec, exec, s[30:31]
	s_xor_b64 vcc, s[34:35], -1
	v_min_i32_e32 v60, v60, v31
	s_and_saveexec_b64 s[34:35], vcc
	s_cbranch_execz .LBB12_125
; %bb.112:                              ;   in Loop: Header=BB12_79 Depth=1
	v_and_b32_e32 v0, 0x108, v62
	v_cmp_ne_u32_e32 vcc, s83, v0
	s_and_saveexec_b64 s[30:31], vcc
	s_xor_b64 vcc, exec, s[30:31]
                                        ; implicit-def: $vgpr10_vgpr11
; %bb.113:                              ;   in Loop: Header=BB12_79 Depth=1
	v_and_b32_e32 v10, 7, v8
; %bb.114:                              ;   in Loop: Header=BB12_79 Depth=1
	s_andn2_saveexec_b64 vcc, vcc
	s_cbranch_execz .LBB12_116
; %bb.115:                              ;   in Loop: Header=BB12_79 Depth=1
	v_and_b32_e32 v10, 7, v8
	v_mad_u64_u32 v[0:1], s[30:31], v10, 24, v[6:7]
	v_ashrrev_i32_e32 v61, 31, v60
	flat_store_dwordx2 v[0:1], v[60:61] offset:8
.LBB12_116:                             ;   in Loop: Header=BB12_79 Depth=1
	s_or_b64 exec, exec, vcc
	v_and_b32_e32 v0, 0x100, v62
	v_cmp_ne_u32_e32 vcc, 0, v0
	s_mov_b64 s[30:31], -1
                                        ; implicit-def: $vgpr12_vgpr13
	s_and_saveexec_b64 s[36:37], vcc
	s_cbranch_execz .LBB12_120
; %bb.117:                              ;   in Loop: Header=BB12_79 Depth=1
	s_waitcnt vmcnt(0)
	v_mad_u64_u32 v[16:17], vcc, v10, 24, v[6:7]
	v_mov_b32_e32 v0, v17
	v_mad_u64_u32 v[0:1], vcc, v57, 24, v[0:1]
	v_mov_b32_e32 v17, v0
	flat_load_dword v0, v[16:17]
                                        ; implicit-def: $vgpr12_vgpr13
	s_waitcnt vmcnt(0) lgkmcnt(0)
	v_cmp_ne_u32_e32 vcc, 1, v0
	v_cmp_eq_u32_e64 s[30:31], 1, v0
	s_and_saveexec_b64 s[62:63], s[30:31]
	s_cbranch_execz .LBB12_119
; %bb.118:                              ;   in Loop: Header=BB12_79 Depth=1
	flat_load_dword v12, v[16:17] offset:4 sc0 sc1
	s_waitcnt vmcnt(0) lgkmcnt(0)
	v_ashrrev_i32_e32 v13, 31, v12
.LBB12_119:                             ;   in Loop: Header=BB12_79 Depth=1
	s_or_b64 exec, exec, s[62:63]
	scratch_load_dwordx2 v[16:17], off, s33 offset:136 ; 8-byte Folded Reload
	s_orn2_b64 s[30:31], vcc, exec
.LBB12_120:                             ;   in Loop: Header=BB12_79 Depth=1
	s_or_b64 exec, exec, s[36:37]
	s_and_saveexec_b64 vcc, s[30:31]
; %bb.121:                              ;   in Loop: Header=BB12_79 Depth=1
	v_accvgpr_read_b32 v1, a21
	v_mul_lo_u32 v0, v57, v38
	v_mul_lo_u32 v1, v10, v1
	v_mad_u64_u32 v[12:13], s[30:31], v10, v38, 0
	v_add3_u32 v13, v13, v1, v0
; %bb.122:                              ;   in Loop: Header=BB12_79 Depth=1
	s_or_b64 exec, exec, vcc
	v_lshl_add_u64 v[0:1], v[54:55], 0, v[12:13]
	s_trap 2
	ds_write_b64 v0, v[0:1]
	v_and_b32_e32 v0, 0x2000, v62
	v_cmp_ne_u32_e32 vcc, 0, v0
	s_and_saveexec_b64 s[30:31], vcc
	s_cbranch_execz .LBB12_124
; %bb.123:                              ;   in Loop: Header=BB12_79 Depth=1
	ds_read_b64 v[0:1], v0 offset:584
	s_waitcnt lgkmcnt(0)
	v_lshl_add_u64 v[0:1], v[0:1], 0, 1
	ds_write_b64 v0, v[0:1] offset:584
.LBB12_124:                             ;   in Loop: Header=BB12_79 Depth=1
	s_or_b64 exec, exec, s[30:31]
	v_lshl_add_u64 v[8:9], v[8:9], 0, 1
.LBB12_125:                             ;   in Loop: Header=BB12_79 Depth=1
	s_or_b64 exec, exec, s[34:35]
	s_and_saveexec_b64 s[30:31], s[10:11]
	s_cbranch_execz .LBB12_168
; %bb.126:                              ;   in Loop: Header=BB12_79 Depth=1
	s_and_saveexec_b64 vcc, s[46:47]
	s_xor_b64 s[34:35], exec, vcc
	s_cbranch_execz .LBB12_165
; %bb.127:                              ;   in Loop: Header=BB12_79 Depth=1
	s_and_saveexec_b64 s[36:37], s[16:17]
	s_cbranch_execz .LBB12_164
; %bb.128:                              ;   in Loop: Header=BB12_79 Depth=1
	s_mov_b64 s[64:65], exec
	v_mbcnt_lo_u32_b32 v0, s64, 0
	v_mbcnt_hi_u32_b32 v0, s65, v0
	v_cmp_eq_u32_e32 vcc, 0, v0
	s_waitcnt lgkmcnt(0)
	s_and_saveexec_b64 s[62:63], vcc
	s_cbranch_execz .LBB12_130
; %bb.129:                              ;   in Loop: Header=BB12_79 Depth=1
	s_bcnt1_i32_b64 vcc_lo, s[64:65]
	v_mov_b32_e32 v56, vcc_lo
	ds_add_u64 v0, v[56:57]
	s_trap 2
.LBB12_130:                             ;   in Loop: Header=BB12_79 Depth=1
	s_or_b64 exec, exec, s[62:63]
	s_trap 2
	ds_read_b64 v[0:1], v0
	v_lshl_add_u64 v[58:59], v[58:59], 0, v[34:35]
	s_waitcnt lgkmcnt(0)
	v_cmp_lt_u64_e32 vcc, v[0:1], v[58:59]
	s_and_saveexec_b64 s[62:63], vcc
	s_cbranch_execz .LBB12_163
; %bb.131:                              ;   in Loop: Header=BB12_79 Depth=1
	s_mov_b32 s74, 0
	s_mov_b64 s[64:65], 0
                                        ; implicit-def: $sgpr66_sgpr67
                                        ; implicit-def: $sgpr68_sgpr69
	s_branch .LBB12_133
.LBB12_132:                             ;   in Loop: Header=BB12_133 Depth=2
	s_or_b64 exec, exec, s[72:73]
	s_and_b64 vcc, exec, vcc
	s_or_b64 s[64:65], vcc, s[64:65]
	s_andn2_b64 vcc, s[66:67], exec
	s_and_b64 s[66:67], s[68:69], exec
	s_or_b64 s[66:67], vcc, s[66:67]
	s_andn2_b64 exec, exec, s[64:65]
	s_cbranch_execz .LBB12_161
.LBB12_133:                             ;   Parent Loop BB12_79 Depth=1
                                        ; =>  This Inner Loop Header: Depth=2
	s_add_i32 s74, s74, 1
	s_cmpk_lg_i32 s74, 0x2710
	s_cselect_b64 s[70:71], -1, 0
	s_and_b64 vcc, exec, s[70:71]
                                        ; implicit-def: $sgpr72_sgpr73
	s_cbranch_vccnz .LBB12_135
; %bb.134:                              ;   in Loop: Header=BB12_133 Depth=2
	s_trap 2
	ds_read_b64 v[0:1], v0
	s_andn2_b64 s[70:71], s[70:71], exec
	s_mov_b32 s74, 0
	s_mov_b64 s[72:73], -1
	s_waitcnt vmcnt(0) lgkmcnt(0)
	flat_load_dword v0, v[0:1] sc0 sc1
	s_waitcnt vmcnt(0) lgkmcnt(0)
	buffer_inv sc0 sc1
	v_cmp_eq_u32_e32 vcc, 0, v0
	s_and_b64 vcc, vcc, exec
	s_or_b64 s[70:71], s[70:71], vcc
.LBB12_135:                             ;   in Loop: Header=BB12_133 Depth=2
	s_andn2_b64 s[68:69], s[68:69], exec
	s_and_b64 s[72:73], s[72:73], exec
	s_mov_b64 vcc, -1
	s_or_b64 s[68:69], s[68:69], s[72:73]
	s_and_saveexec_b64 s[72:73], s[70:71]
	s_cbranch_execz .LBB12_132
; %bb.136:                              ;   in Loop: Header=BB12_133 Depth=2
	s_sleep 1
	s_trap 2
	ds_read_b64 v[0:1], v0
	s_andn2_b64 s[68:69], s[68:69], exec
	s_waitcnt lgkmcnt(0)
	v_cmp_ge_u64_e32 vcc, v[0:1], v[58:59]
	s_orn2_b64 vcc, vcc, exec
	s_branch .LBB12_132
.LBB12_137:                             ;   in Loop: Header=BB12_79 Depth=1
	s_or_b64 exec, exec, s[36:37]
	v_and_b32_e32 v0, 8, v62
.LBB12_138:                             ;   in Loop: Header=BB12_79 Depth=1
	s_or_b64 exec, exec, s[34:35]
	v_cmp_eq_u32_e32 vcc, 0, v0
	s_orn2_b64 s[34:35], vcc, exec
	;;#ASMSTART
	s_wakeup
	;;#ASMEND
.LBB12_139:                             ;   in Loop: Header=BB12_79 Depth=1
	s_or_b64 exec, exec, s[30:31]
	s_xor_b64 vcc, s[34:35], -1
	v_min_i32_e32 v60, v60, v31
	s_and_saveexec_b64 s[34:35], vcc
	s_cbranch_execz .LBB12_149
; %bb.140:                              ;   in Loop: Header=BB12_79 Depth=1
	v_and_b32_e32 v0, 0x100, v62
	v_cmp_ne_u32_e32 vcc, 0, v0
	v_and_b32_e32 v0, 7, v8
	s_mov_b64 s[30:31], -1
                                        ; implicit-def: $vgpr10_vgpr11
	s_and_saveexec_b64 s[36:37], vcc
	s_cbranch_execz .LBB12_144
; %bb.141:                              ;   in Loop: Header=BB12_79 Depth=1
	v_mad_u64_u32 v[12:13], vcc, v0, 24, v[6:7]
	flat_load_dword v1, v[12:13]
	v_ashrrev_i32_e32 v61, 31, v60
	flat_store_dwordx2 v[12:13], v[60:61] offset:8
                                        ; implicit-def: $vgpr10_vgpr11
	s_waitcnt vmcnt(0) lgkmcnt(0)
	v_cmp_ne_u32_e32 vcc, 1, v1
	v_cmp_eq_u32_e64 s[30:31], 1, v1
	s_and_saveexec_b64 s[64:65], s[30:31]
	s_cbranch_execz .LBB12_143
; %bb.142:                              ;   in Loop: Header=BB12_79 Depth=1
	flat_load_dword v10, v[12:13] offset:4 sc0 sc1
	s_waitcnt vmcnt(0) lgkmcnt(0)
	v_ashrrev_i32_e32 v11, 31, v10
.LBB12_143:                             ;   in Loop: Header=BB12_79 Depth=1
	s_or_b64 exec, exec, s[64:65]
	s_orn2_b64 s[30:31], vcc, exec
.LBB12_144:                             ;   in Loop: Header=BB12_79 Depth=1
	s_or_b64 exec, exec, s[36:37]
	s_and_saveexec_b64 vcc, s[30:31]
; %bb.145:                              ;   in Loop: Header=BB12_79 Depth=1
	v_mad_i64_i32 v[10:11], s[30:31], v0, v38, 0
; %bb.146:                              ;   in Loop: Header=BB12_79 Depth=1
	s_or_b64 exec, exec, vcc
	v_lshl_add_u64 v[0:1], v[54:55], 0, v[10:11]
	ds_write_b64 v0, v[0:1] offset:792
	v_and_b32_e32 v0, 0x2000, v62
	v_cmp_ne_u32_e32 vcc, 0, v0
	s_and_saveexec_b64 s[30:31], vcc
	s_cbranch_execz .LBB12_148
; %bb.147:                              ;   in Loop: Header=BB12_79 Depth=1
	ds_read_b64 v[0:1], v0 offset:584
	s_waitcnt lgkmcnt(0)
	v_lshl_add_u64 v[0:1], v[0:1], 0, 1
	ds_write_b64 v0, v[0:1] offset:584
.LBB12_148:                             ;   in Loop: Header=BB12_79 Depth=1
	s_or_b64 exec, exec, s[30:31]
	v_lshl_add_u64 v[8:9], v[8:9], 0, 1
.LBB12_149:                             ;   in Loop: Header=BB12_79 Depth=1
	s_or_b64 exec, exec, s[34:35]
	s_and_saveexec_b64 s[30:31], s[10:11]
	s_cbranch_execz .LBB12_187
; %bb.150:                              ;   in Loop: Header=BB12_79 Depth=1
	s_and_saveexec_b64 vcc, s[46:47]
	s_xor_b64 s[34:35], exec, vcc
	s_cbranch_execz .LBB12_184
; %bb.151:                              ;   in Loop: Header=BB12_79 Depth=1
	s_and_saveexec_b64 s[36:37], s[16:17]
	s_cbranch_execz .LBB12_183
; %bb.152:                              ;   in Loop: Header=BB12_79 Depth=1
	s_mov_b64 s[66:67], exec
	v_mbcnt_lo_u32_b32 v0, s66, 0
	v_mbcnt_hi_u32_b32 v0, s67, v0
	v_cmp_eq_u32_e32 vcc, 0, v0
	s_waitcnt lgkmcnt(0)
	s_and_saveexec_b64 s[64:65], vcc
	s_cbranch_execz .LBB12_154
; %bb.153:                              ;   in Loop: Header=BB12_79 Depth=1
	s_bcnt1_i32_b64 vcc_lo, s[66:67]
	v_mov_b32_e32 v56, vcc_lo
	ds_add_u64 v0, v[56:57]
	s_trap 2
.LBB12_154:                             ;   in Loop: Header=BB12_79 Depth=1
	s_or_b64 exec, exec, s[64:65]
	s_trap 2
	ds_read_b64 v[0:1], v0
	v_lshl_add_u64 v[58:59], v[58:59], 0, v[34:35]
	s_waitcnt lgkmcnt(0)
	v_cmp_lt_u64_e32 vcc, v[0:1], v[58:59]
	s_and_saveexec_b64 s[64:65], vcc
	s_cbranch_execz .LBB12_182
; %bb.155:                              ;   in Loop: Header=BB12_79 Depth=1
	s_mov_b32 s76, 0
	s_mov_b64 s[66:67], 0
                                        ; implicit-def: $sgpr68_sgpr69
                                        ; implicit-def: $sgpr70_sgpr71
	s_branch .LBB12_157
.LBB12_156:                             ;   in Loop: Header=BB12_157 Depth=2
	s_or_b64 exec, exec, s[74:75]
	s_and_b64 vcc, exec, vcc
	s_or_b64 s[66:67], vcc, s[66:67]
	s_andn2_b64 vcc, s[68:69], exec
	s_and_b64 s[68:69], s[70:71], exec
	s_or_b64 s[68:69], vcc, s[68:69]
	s_andn2_b64 exec, exec, s[66:67]
	s_cbranch_execz .LBB12_180
.LBB12_157:                             ;   Parent Loop BB12_79 Depth=1
                                        ; =>  This Inner Loop Header: Depth=2
	s_add_i32 s76, s76, 1
	s_cmpk_lg_i32 s76, 0x2710
	s_cselect_b64 s[72:73], -1, 0
	s_and_b64 vcc, exec, s[72:73]
                                        ; implicit-def: $sgpr74_sgpr75
	s_cbranch_vccnz .LBB12_159
; %bb.158:                              ;   in Loop: Header=BB12_157 Depth=2
	s_trap 2
	ds_read_b64 v[0:1], v0
	s_andn2_b64 s[72:73], s[72:73], exec
	s_mov_b32 s76, 0
	s_mov_b64 s[74:75], -1
	s_waitcnt vmcnt(0) lgkmcnt(0)
	flat_load_dword v0, v[0:1] sc0 sc1
	s_waitcnt vmcnt(0) lgkmcnt(0)
	buffer_inv sc0 sc1
	v_cmp_eq_u32_e32 vcc, 0, v0
	s_and_b64 vcc, vcc, exec
	s_or_b64 s[72:73], s[72:73], vcc
.LBB12_159:                             ;   in Loop: Header=BB12_157 Depth=2
	s_andn2_b64 s[70:71], s[70:71], exec
	s_and_b64 s[74:75], s[74:75], exec
	s_mov_b64 vcc, -1
	s_or_b64 s[70:71], s[70:71], s[74:75]
	s_and_saveexec_b64 s[74:75], s[72:73]
	s_cbranch_execz .LBB12_156
; %bb.160:                              ;   in Loop: Header=BB12_157 Depth=2
	s_sleep 1
	s_trap 2
	ds_read_b64 v[0:1], v0
	s_andn2_b64 s[70:71], s[70:71], exec
	s_waitcnt lgkmcnt(0)
	v_cmp_ge_u64_e32 vcc, v[0:1], v[58:59]
	s_orn2_b64 vcc, vcc, exec
	s_branch .LBB12_156
.LBB12_161:                             ;   in Loop: Header=BB12_79 Depth=1
	s_or_b64 exec, exec, s[64:65]
	s_and_saveexec_b64 vcc, s[66:67]
	s_xor_b64 vcc, exec, vcc
	s_cbranch_execz .LBB12_163
; %bb.162:                              ;   in Loop: Header=BB12_79 Depth=1
	ds_write_b32 v0, v39
	s_trap 2
.LBB12_163:                             ;   in Loop: Header=BB12_79 Depth=1
	s_or_b64 exec, exec, s[62:63]
	;;#ASMSTART
	s_wakeup
	;;#ASMEND
.LBB12_164:                             ;   in Loop: Header=BB12_79 Depth=1
	s_or_b64 exec, exec, s[36:37]
.LBB12_165:                             ;   in Loop: Header=BB12_79 Depth=1
	s_andn2_saveexec_b64 vcc, s[34:35]
	s_cbranch_execz .LBB12_167
; %bb.166:                              ;   in Loop: Header=BB12_79 Depth=1
	s_waitcnt lgkmcnt(0)
	s_barrier
.LBB12_167:                             ;   in Loop: Header=BB12_79 Depth=1
	s_or_b64 exec, exec, vcc
.LBB12_168:                             ;   in Loop: Header=BB12_79 Depth=1
	s_or_b64 exec, exec, s[30:31]
	s_trap 2
	ds_read_b32 v10, v0
	v_and_b32_e32 v0, 0x4000, v62
	v_cmp_ne_u32_e32 vcc, 0, v0
	s_xor_b64 s[30:31], s[6:7], -1
	s_and_b64 vcc, s[30:31], vcc
	s_and_saveexec_b64 s[30:31], vcc
	s_cbranch_execz .LBB12_206
; %bb.169:                              ;   in Loop: Header=BB12_79 Depth=1
	s_and_saveexec_b64 vcc, s[46:47]
	s_xor_b64 s[34:35], exec, vcc
	s_cbranch_execz .LBB12_203
; %bb.170:                              ;   in Loop: Header=BB12_79 Depth=1
	s_and_saveexec_b64 s[36:37], s[16:17]
	s_cbranch_execz .LBB12_202
; %bb.171:                              ;   in Loop: Header=BB12_79 Depth=1
	s_mov_b64 s[64:65], exec
	v_mbcnt_lo_u32_b32 v0, s64, 0
	v_mbcnt_hi_u32_b32 v0, s65, v0
	v_cmp_eq_u32_e32 vcc, 0, v0
	s_waitcnt lgkmcnt(0)
	s_and_saveexec_b64 s[62:63], vcc
	s_cbranch_execz .LBB12_173
; %bb.172:                              ;   in Loop: Header=BB12_79 Depth=1
	s_bcnt1_i32_b64 vcc_lo, s[64:65]
	v_mov_b32_e32 v56, vcc_lo
	ds_add_u64 v0, v[56:57]
	s_trap 2
.LBB12_173:                             ;   in Loop: Header=BB12_79 Depth=1
	s_or_b64 exec, exec, s[62:63]
	s_trap 2
	ds_read_b64 v[0:1], v0
	v_lshl_add_u64 v[58:59], v[58:59], 0, v[34:35]
	s_waitcnt lgkmcnt(0)
	v_cmp_lt_u64_e32 vcc, v[0:1], v[58:59]
	s_and_saveexec_b64 s[62:63], vcc
	s_cbranch_execz .LBB12_201
; %bb.174:                              ;   in Loop: Header=BB12_79 Depth=1
	s_mov_b32 s74, 0
	s_mov_b64 s[64:65], 0
                                        ; implicit-def: $sgpr66_sgpr67
                                        ; implicit-def: $sgpr68_sgpr69
	s_branch .LBB12_176
.LBB12_175:                             ;   in Loop: Header=BB12_176 Depth=2
	s_or_b64 exec, exec, s[72:73]
	s_and_b64 vcc, exec, vcc
	s_or_b64 s[64:65], vcc, s[64:65]
	s_andn2_b64 vcc, s[66:67], exec
	s_and_b64 s[66:67], s[68:69], exec
	s_or_b64 s[66:67], vcc, s[66:67]
	s_andn2_b64 exec, exec, s[64:65]
	s_cbranch_execz .LBB12_199
.LBB12_176:                             ;   Parent Loop BB12_79 Depth=1
                                        ; =>  This Inner Loop Header: Depth=2
	s_add_i32 s74, s74, 1
	s_cmpk_lg_i32 s74, 0x2710
	s_cselect_b64 s[70:71], -1, 0
	s_and_b64 vcc, exec, s[70:71]
                                        ; implicit-def: $sgpr72_sgpr73
	s_cbranch_vccnz .LBB12_178
; %bb.177:                              ;   in Loop: Header=BB12_176 Depth=2
	s_trap 2
	ds_read_b64 v[0:1], v0
	s_andn2_b64 s[70:71], s[70:71], exec
	s_mov_b32 s74, 0
	s_mov_b64 s[72:73], -1
	s_waitcnt vmcnt(0) lgkmcnt(0)
	flat_load_dword v0, v[0:1] sc0 sc1
	s_waitcnt vmcnt(0) lgkmcnt(0)
	buffer_inv sc0 sc1
	v_cmp_eq_u32_e32 vcc, 0, v0
	s_and_b64 vcc, vcc, exec
	s_or_b64 s[70:71], s[70:71], vcc
.LBB12_178:                             ;   in Loop: Header=BB12_176 Depth=2
	s_andn2_b64 s[68:69], s[68:69], exec
	s_and_b64 s[72:73], s[72:73], exec
	s_mov_b64 vcc, -1
	s_or_b64 s[68:69], s[68:69], s[72:73]
	s_and_saveexec_b64 s[72:73], s[70:71]
	s_cbranch_execz .LBB12_175
; %bb.179:                              ;   in Loop: Header=BB12_176 Depth=2
	s_sleep 1
	s_trap 2
	ds_read_b64 v[0:1], v0
	s_andn2_b64 s[68:69], s[68:69], exec
	s_waitcnt lgkmcnt(0)
	v_cmp_ge_u64_e32 vcc, v[0:1], v[58:59]
	s_orn2_b64 vcc, vcc, exec
	s_branch .LBB12_175
.LBB12_180:                             ;   in Loop: Header=BB12_79 Depth=1
	s_or_b64 exec, exec, s[66:67]
	s_and_saveexec_b64 vcc, s[68:69]
	s_xor_b64 vcc, exec, vcc
	s_cbranch_execz .LBB12_182
; %bb.181:                              ;   in Loop: Header=BB12_79 Depth=1
	ds_write_b32 v0, v39
	s_trap 2
.LBB12_182:                             ;   in Loop: Header=BB12_79 Depth=1
	s_or_b64 exec, exec, s[64:65]
	;;#ASMSTART
	s_wakeup
	;;#ASMEND
.LBB12_183:                             ;   in Loop: Header=BB12_79 Depth=1
	s_or_b64 exec, exec, s[36:37]
.LBB12_184:                             ;   in Loop: Header=BB12_79 Depth=1
	s_andn2_saveexec_b64 vcc, s[34:35]
	s_cbranch_execz .LBB12_186
; %bb.185:                              ;   in Loop: Header=BB12_79 Depth=1
	s_waitcnt lgkmcnt(0)
	s_barrier
.LBB12_186:                             ;   in Loop: Header=BB12_79 Depth=1
	s_or_b64 exec, exec, vcc
.LBB12_187:                             ;   in Loop: Header=BB12_79 Depth=1
	s_or_b64 exec, exec, s[30:31]
	s_trap 2
	ds_read_b32 v10, v0
	v_and_b32_e32 v0, 0x4000, v62
	v_cmp_ne_u32_e32 vcc, 0, v0
	s_xor_b64 s[30:31], s[6:7], -1
	s_and_b64 vcc, s[30:31], vcc
	s_and_saveexec_b64 s[30:31], vcc
	s_cbranch_execz .LBB12_293
; %bb.188:                              ;   in Loop: Header=BB12_79 Depth=1
	s_and_saveexec_b64 vcc, s[46:47]
	s_xor_b64 s[34:35], exec, vcc
	s_cbranch_execz .LBB12_290
; %bb.189:                              ;   in Loop: Header=BB12_79 Depth=1
	s_and_saveexec_b64 s[36:37], s[16:17]
	s_cbranch_execz .LBB12_289
; %bb.190:                              ;   in Loop: Header=BB12_79 Depth=1
	s_mov_b64 s[66:67], exec
	v_mbcnt_lo_u32_b32 v0, s66, 0
	v_mbcnt_hi_u32_b32 v0, s67, v0
	v_cmp_eq_u32_e32 vcc, 0, v0
	s_waitcnt lgkmcnt(0)
	s_and_saveexec_b64 s[64:65], vcc
	s_cbranch_execz .LBB12_192
; %bb.191:                              ;   in Loop: Header=BB12_79 Depth=1
	s_bcnt1_i32_b64 vcc_lo, s[66:67]
	v_mov_b32_e32 v56, vcc_lo
	ds_add_u64 v0, v[56:57]
	s_trap 2
.LBB12_192:                             ;   in Loop: Header=BB12_79 Depth=1
	s_or_b64 exec, exec, s[64:65]
	s_trap 2
	ds_read_b64 v[0:1], v0
	v_lshl_add_u64 v[58:59], v[58:59], 0, v[34:35]
	s_waitcnt lgkmcnt(0)
	v_cmp_lt_u64_e32 vcc, v[0:1], v[58:59]
	s_and_saveexec_b64 s[64:65], vcc
	s_cbranch_execz .LBB12_288
; %bb.193:                              ;   in Loop: Header=BB12_79 Depth=1
	s_mov_b32 s76, 0
	s_mov_b64 s[66:67], 0
                                        ; implicit-def: $sgpr68_sgpr69
                                        ; implicit-def: $sgpr70_sgpr71
	s_branch .LBB12_195
.LBB12_194:                             ;   in Loop: Header=BB12_195 Depth=2
	s_or_b64 exec, exec, s[74:75]
	s_and_b64 vcc, exec, vcc
	s_or_b64 s[66:67], vcc, s[66:67]
	s_andn2_b64 vcc, s[68:69], exec
	s_and_b64 s[68:69], s[70:71], exec
	s_or_b64 s[68:69], vcc, s[68:69]
	s_andn2_b64 exec, exec, s[66:67]
	s_cbranch_execz .LBB12_286
.LBB12_195:                             ;   Parent Loop BB12_79 Depth=1
                                        ; =>  This Inner Loop Header: Depth=2
	s_add_i32 s76, s76, 1
	s_cmpk_lg_i32 s76, 0x2710
	s_cselect_b64 s[72:73], -1, 0
	s_and_b64 vcc, exec, s[72:73]
                                        ; implicit-def: $sgpr74_sgpr75
	s_cbranch_vccnz .LBB12_197
; %bb.196:                              ;   in Loop: Header=BB12_195 Depth=2
	s_trap 2
	ds_read_b64 v[0:1], v0
	s_andn2_b64 s[72:73], s[72:73], exec
	s_mov_b32 s76, 0
	s_mov_b64 s[74:75], -1
	s_waitcnt vmcnt(0) lgkmcnt(0)
	flat_load_dword v0, v[0:1] sc0 sc1
	s_waitcnt vmcnt(0) lgkmcnt(0)
	buffer_inv sc0 sc1
	v_cmp_eq_u32_e32 vcc, 0, v0
	s_and_b64 vcc, vcc, exec
	s_or_b64 s[72:73], s[72:73], vcc
.LBB12_197:                             ;   in Loop: Header=BB12_195 Depth=2
	s_andn2_b64 s[70:71], s[70:71], exec
	s_and_b64 s[74:75], s[74:75], exec
	s_mov_b64 vcc, -1
	s_or_b64 s[70:71], s[70:71], s[74:75]
	s_and_saveexec_b64 s[74:75], s[72:73]
	s_cbranch_execz .LBB12_194
; %bb.198:                              ;   in Loop: Header=BB12_195 Depth=2
	s_sleep 1
	s_trap 2
	ds_read_b64 v[0:1], v0
	s_andn2_b64 s[70:71], s[70:71], exec
	s_waitcnt lgkmcnt(0)
	v_cmp_ge_u64_e32 vcc, v[0:1], v[58:59]
	s_orn2_b64 vcc, vcc, exec
	s_branch .LBB12_194
.LBB12_199:                             ;   in Loop: Header=BB12_79 Depth=1
	s_or_b64 exec, exec, s[64:65]
	s_and_saveexec_b64 vcc, s[66:67]
	s_xor_b64 vcc, exec, vcc
	s_cbranch_execz .LBB12_201
; %bb.200:                              ;   in Loop: Header=BB12_79 Depth=1
	ds_write_b32 v0, v39
	s_trap 2
.LBB12_201:                             ;   in Loop: Header=BB12_79 Depth=1
	s_or_b64 exec, exec, s[62:63]
	;;#ASMSTART
	s_wakeup
	;;#ASMEND
.LBB12_202:                             ;   in Loop: Header=BB12_79 Depth=1
	s_or_b64 exec, exec, s[36:37]
.LBB12_203:                             ;   in Loop: Header=BB12_79 Depth=1
	s_andn2_saveexec_b64 vcc, s[34:35]
	s_cbranch_execz .LBB12_205
; %bb.204:                              ;   in Loop: Header=BB12_79 Depth=1
	s_waitcnt lgkmcnt(0)
	s_barrier
.LBB12_205:                             ;   in Loop: Header=BB12_79 Depth=1
	s_or_b64 exec, exec, vcc
.LBB12_206:                             ;   in Loop: Header=BB12_79 Depth=1
	s_or_b64 exec, exec, s[30:31]
	s_trap 2
	ds_read_b64 v[0:1], v0
	s_mov_b64 s[30:31], 0
	s_waitcnt lgkmcnt(0)
	v_readfirstlane_b32 vcc_lo, v0
	v_readfirstlane_b32 vcc_hi, v1
	s_cmp_eq_u64 vcc, 0
	s_cselect_b64 vcc, -1, 0
	s_or_b64 vcc, vcc, vcc
	s_and_b64 vcc, exec, vcc
	s_cbranch_vccnz .LBB12_240
; %bb.207:                              ;   in Loop: Header=BB12_79 Depth=1
	s_trap 2
	ds_read_b64 v[0:1], v0
	v_cmp_eq_u32_e64 s[30:31], 0, v10
	s_waitcnt lgkmcnt(0)
	v_cmp_ne_u64_e32 vcc, 0, v[0:1]
	v_cndmask_b32_e64 v30, 0, v60, s[30:31]
	s_cbranch_vccz .LBB12_245
; %bb.208:                              ;   in Loop: Header=BB12_79 Depth=1
	s_mov_b64 s[34:35], -1
	s_and_saveexec_b64 s[30:31], s[18:19]
	s_cbranch_execz .LBB12_210
; %bb.209:                              ;   in Loop: Header=BB12_79 Depth=1
	ds_read_b32 v0, v0 offset:720
	s_waitcnt lgkmcnt(0)
	v_and_b32_e32 v0, 15, v0
	v_cmp_eq_u32_e32 vcc, 0, v0
	s_orn2_b64 s[34:35], vcc, exec
.LBB12_210:                             ;   in Loop: Header=BB12_79 Depth=1
	s_or_b64 exec, exec, s[30:31]
	s_and_saveexec_b64 s[30:31], s[20:21]
	s_cbranch_execz .LBB12_212
; %bb.211:                              ;   in Loop: Header=BB12_79 Depth=1
	ds_read_b32 v0, v0 offset:784
	s_waitcnt lgkmcnt(0)
	v_and_b32_e32 v0, 15, v0
	v_cmp_eq_u32_e32 vcc, 0, v0
	s_and_b64 vcc, s[34:35], vcc
	s_andn2_b64 s[34:35], s[34:35], exec
	s_and_b64 vcc, vcc, exec
	s_or_b64 s[34:35], s[34:35], vcc
.LBB12_212:                             ;   in Loop: Header=BB12_79 Depth=1
	s_or_b64 exec, exec, s[30:31]
	s_xor_b64 vcc, s[34:35], -1
	v_cndmask_b32_e64 v0, 0, 1, vcc
	s_mov_b64 s[30:31], -1
	;;#ASMSTART
	;;#ASMEND
	v_mov_b32_e32 v12, 0
	v_cmp_ne_u32_e32 vcc, 0, v0
	v_mov_b32_e32 v3, v30
	v_mov_b32_e32 v13, v44
	;; [unrolled: 1-line block ×3, first 2 shown]
	s_cbranch_vccnz .LBB12_228
; %bb.213:                              ;   in Loop: Header=BB12_79 Depth=1
	v_ashrrev_i32_e32 v0, 31, v30
	v_lshrrev_b32_e32 v0, 20, v0
	v_add_u32_e32 v0, v30, v0
	v_ashrrev_i32_e32 v1, 12, v0
	v_sub_u32_e32 v0, v1, v29
	v_cmp_lt_i32_e32 vcc, 0, v0
	s_and_saveexec_b64 s[30:31], vcc
	s_cbranch_execz .LBB12_217
; %bb.214:                              ;   in Loop: Header=BB12_79 Depth=1
	s_trap 2
	ds_read_b64 v[10:11], v0
	v_mov_b64_e32 v[18:19], v[4:5]
	ds_read_b128 v[2:5], v0
	s_waitcnt vmcnt(0)
	v_accvgpr_read_b32 v16, a42
	v_accvgpr_read_b32 v17, a43
	s_waitcnt lgkmcnt(1)
	v_lshl_add_u64 v[10:11], v[10:11], 0, v[16:17]
	s_mov_b64 s[34:35], 0
	s_waitcnt lgkmcnt(0)
	v_lshl_add_u64 v[12:13], v[2:3], 0, v[16:17]
	v_lshl_add_u64 v[16:17], v[4:5], 0, v[16:17]
.LBB12_215:                             ;   Parent Loop BB12_79 Depth=1
                                        ; =>  This Inner Loop Header: Depth=2
	global_load_dwordx4 v[2:5], v[10:11], off nt
	global_load_dwordx4 v[22:25], v[10:11], off offset:1024 nt
	global_load_dwordx4 v[26:29], v[10:11], off offset:2048 nt
	;; [unrolled: 1-line block ×3, first 2 shown]
	v_sub_u32_e32 v0, v0, v34
	v_cmp_gt_i32_e32 vcc, 1, v0
	v_lshl_add_u64 v[10:11], v[10:11], 0, v[18:19]
	s_or_b64 s[34:35], vcc, s[34:35]
	s_waitcnt vmcnt(3)
	global_store_dwordx4 v[12:13], v[2:5], off nt
	s_waitcnt vmcnt(3)
	global_store_dwordx4 v[12:13], v[22:25], off offset:1024 nt
	s_waitcnt vmcnt(3)
	global_store_dwordx4 v[12:13], v[26:29], off offset:2048 nt
	;; [unrolled: 2-line block ×3, first 2 shown]
	global_store_dwordx4 v[16:17], v[2:5], off nt
	global_store_dwordx4 v[16:17], v[22:25], off offset:1024 nt
	global_store_dwordx4 v[16:17], v[26:29], off offset:2048 nt
	;; [unrolled: 1-line block ×3, first 2 shown]
	v_lshl_add_u64 v[12:13], v[12:13], 0, v[18:19]
	v_lshl_add_u64 v[16:17], v[16:17], 0, v[18:19]
	s_andn2_b64 exec, exec, s[34:35]
	s_cbranch_execnz .LBB12_215
; %bb.216:                              ;   in Loop: Header=BB12_79 Depth=1
	s_or_b64 exec, exec, s[34:35]
	v_accvgpr_read_b32 v27, a23
	v_accvgpr_read_b32 v24, a26
	;; [unrolled: 1-line block ×7, first 2 shown]
	v_mov_b64_e32 v[4:5], v[18:19]
	v_accvgpr_read_b32 v50, a34
.LBB12_217:                             ;   in Loop: Header=BB12_79 Depth=1
	s_or_b64 exec, exec, s[30:31]
	v_lshlrev_b32_e32 v18, 12, v1
	v_cmp_ne_u32_e32 vcc, v30, v18
	s_mov_b64 s[30:31], 0
	v_mov_b32_e32 v12, 0
                                        ; implicit-def: $vgpr3
                                        ; implicit-def: $vgpr13
                                        ; implicit-def: $vgpr10
	s_and_saveexec_b64 s[62:63], vcc
	s_cbranch_execz .LBB12_227
; %bb.218:                              ;   in Loop: Header=BB12_79 Depth=1
	v_lshlrev_b32_e32 v0, 6, v0
	v_accvgpr_read_b32 v1, a38
	v_sub_u32_e32 v0, v1, v0
	v_ashrrev_i32_e32 v1, 31, v0
	v_lshrrev_b32_e32 v1, 26, v1
	v_sub_u32_e32 v2, v30, v18
	v_add_u32_e32 v1, v0, v1
	v_ashrrev_i32_e32 v3, 6, v1
	v_and_b32_e32 v1, 0xffffffc0, v1
	v_ashrrev_i32_e32 v4, 31, v2
	v_sub_u32_e32 v1, v0, v1
	v_lshrrev_b32_e32 v4, 22, v4
	v_lshlrev_b32_e32 v0, 4, v1
	v_add_u32_e32 v4, v2, v4
	v_lshl_add_u32 v10, v3, 10, v0
	v_and_b32_e32 v19, 0xfffffc00, v4
	v_sub_u32_e32 v0, v2, v10
	v_sub_u32_e32 v2, v2, v19
	v_ashrrev_i32_e32 v5, 10, v4
	v_cmp_lt_i32_e64 s[30:31], 15, v2
	s_nop 1
	v_addc_co_u32_e64 v4, vcc, 0, v5, s[30:31]
	v_sub_u32_e32 v22, v4, v3
	v_cmp_lt_i32_e32 vcc, 15, v0
	s_and_saveexec_b64 s[64:65], vcc
	s_cbranch_execz .LBB12_224
; %bb.219:                              ;   in Loop: Header=BB12_79 Depth=1
	s_trap 2
	ds_read_b64 v[4:5], v0
	ds_read_b128 v[12:15], v0
	v_add_u32_e32 v10, v10, v18
	v_ashrrev_i32_e32 v11, 31, v10
	v_mov_b32_e32 v23, v57
	s_waitcnt vmcnt(0) lgkmcnt(0)
	v_lshl_add_u64 v[16:17], v[4:5], 0, v[10:11]
	v_lshl_add_u64 v[56:57], v[12:13], 0, v[10:11]
	;; [unrolled: 1-line block ×3, first 2 shown]
	s_mov_b64 s[66:67], 0
.LBB12_220:                             ;   Parent Loop BB12_79 Depth=1
                                        ; =>  This Loop Header: Depth=2
                                        ;       Child Loop BB12_221 Depth 3
	global_load_dwordx4 v[10:13], v[16:17], off nt
	s_mov_b64 s[70:71], -1
	s_mov_b64 s[68:69], 0
	s_waitcnt vmcnt(0)
.LBB12_221:                             ;   Parent Loop BB12_79 Depth=1
                                        ;     Parent Loop BB12_220 Depth=2
                                        ; =>    This Inner Loop Header: Depth=3
	s_cmp_eq_u32 s68, 0
	s_cselect_b64 s[34:35], -1, 0
	s_cmp_eq_u32 s68, 1
	s_cselect_b64 s[36:37], -1, 0
	v_cndmask_b32_e64 v3, 0, 1, s[70:71]
	v_cndmask_b32_e64 v5, v57, v51, s[36:37]
	;; [unrolled: 1-line block ×3, first 2 shown]
	v_cmp_ne_u32_e32 vcc, 1, v3
	global_store_dwordx4 v[4:5], v[10:13], off nt
	v_lshl_add_u64 v[4:5], v[4:5], 0, s[48:49]
	s_mov_b64 s[70:71], 0
	s_mov_b64 s[68:69], 1
	s_and_b64 vcc, exec, vcc
	v_cndmask_b32_e64 v51, v51, v5, s[36:37]
	v_cndmask_b32_e64 v50, v50, v4, s[36:37]
	;; [unrolled: 1-line block ×4, first 2 shown]
	s_cbranch_vccz .LBB12_221
; %bb.222:                              ;   in Loop: Header=BB12_220 Depth=2
	v_accvgpr_read_b32 v4, a28
	v_sub_u32_e32 v0, v0, v28
	v_accvgpr_read_b32 v5, a29
	v_cmp_gt_i32_e32 vcc, 16, v0
	v_lshl_add_u64 v[56:57], v[56:57], 0, v[4:5]
	v_lshl_add_u64 v[50:51], v[50:51], 0, v[4:5]
	;; [unrolled: 1-line block ×3, first 2 shown]
	s_or_b64 s[66:67], vcc, s[66:67]
	v_sub_u32_e32 v22, v22, v34
	s_andn2_b64 exec, exec, s[66:67]
	s_cbranch_execnz .LBB12_220
; %bb.223:                              ;   in Loop: Header=BB12_79 Depth=1
	s_or_b64 exec, exec, s[66:67]
	v_accvgpr_read_b32 v14, a30
	v_accvgpr_read_b32 v51, a35
	v_mov_b32_e32 v57, v23
	v_accvgpr_read_b32 v15, a31
	v_accvgpr_read_b32 v50, a34
.LBB12_224:                             ;   in Loop: Header=BB12_79 Depth=1
	s_or_b64 exec, exec, s[64:65]
	v_and_b32_e32 v0, 15, v30
	v_cndmask_b32_e64 v3, v2, v0, s[30:31]
	s_mov_b64 s[34:35], 0
	v_mov_b32_e32 v12, 0
	v_cmp_ne_u32_e32 vcc, 0, v3
                                        ; implicit-def: $vgpr13
                                        ; implicit-def: $vgpr10
	s_mov_b64 s[36:37], exec
	v_accvgpr_read_b32 v4, a32
	s_and_b64 vcc, s[36:37], vcc
	v_accvgpr_read_b32 v5, a33
	s_mov_b64 exec, vcc
	s_cbranch_execz .LBB12_226
; %bb.225:                              ;   in Loop: Header=BB12_79 Depth=1
	v_sub_u32_e32 v0, v2, v0
	v_cndmask_b32_e64 v0, 0, v0, s[30:31]
	v_cmp_lt_i32_e32 vcc, 0, v22
	v_add3_u32 v12, v19, v18, v0
	s_mov_b64 s[34:35], exec
	v_cndmask_b32_e32 v0, 0, v34, vcc
	v_sub_u32_e32 v0, v0, v22
	v_lshl_add_u32 v13, v0, 6, v1
	v_ashrrev_i32_e32 v0, 31, v13
	v_lshrrev_b32_e32 v0, 26, v0
	v_add_u32_e32 v0, v13, v0
	v_ashrrev_i32_e32 v10, 6, v0
.LBB12_226:                             ;   in Loop: Header=BB12_79 Depth=1
	s_or_b64 exec, exec, s[36:37]
	s_and_b64 s[30:31], s[34:35], exec
.LBB12_227:                             ;   in Loop: Header=BB12_79 Depth=1
	s_or_b64 exec, exec, s[62:63]
.LBB12_228:                             ;   in Loop: Header=BB12_79 Depth=1
	s_and_saveexec_b64 s[36:37], s[30:31]
	s_cbranch_execz .LBB12_239
; %bb.229:                              ;   in Loop: Header=BB12_79 Depth=1
	v_ashrrev_i32_e32 v0, 31, v3
	v_lshrrev_b32_e32 v0, 21, v0
	v_add_u32_e32 v0, v3, v0
	v_ashrrev_i32_e32 v0, 11, v0
	v_sub_u32_e32 v22, v0, v10
	v_cmp_lt_i32_e32 vcc, 0, v22
	v_ashrrev_i32_e32 v1, 31, v13
	s_and_saveexec_b64 s[30:31], vcc
	s_cbranch_execz .LBB12_233
; %bb.230:                              ;   in Loop: Header=BB12_79 Depth=1
	v_accvgpr_write_b32 a50, v0
	v_lshrrev_b32_e32 v0, 26, v1
	v_add_u32_e32 v0, v13, v0
	v_accvgpr_write_b32 a47, v3
	s_trap 2
	v_accvgpr_write_b32 a49, v1
	v_and_b32_e32 v11, 0xffffffc0, v0
	ds_read_b64 v[4:5], v0
	ds_read_b128 v[0:3], v0
	v_sub_u32_e32 v11, v13, v11
	v_lshlrev_b32_e32 v10, 11, v10
	v_add3_u32 v14, v12, v11, v10
	v_ashrrev_i32_e32 v15, 31, v14
	v_accvgpr_write_b32 a18, v58
	s_waitcnt lgkmcnt(0)
	v_lshl_add_u64 v[10:11], v[0:1], 0, v[14:15]
	v_lshl_add_u64 v[0:1], v[4:5], 0, s[50:51]
	v_accvgpr_write_b32 a39, v30
	v_accvgpr_write_b32 a13, v57
	;; [unrolled: 1-line block ×5, first 2 shown]
	v_lshl_add_u64 v[12:13], v[2:3], 0, v[14:15]
	s_waitcnt vmcnt(0)
	v_lshl_add_u64 v[16:17], v[0:1], 0, v[14:15]
	s_mov_b64 s[34:35], 0
.LBB12_231:                             ;   Parent Loop BB12_79 Depth=1
                                        ; =>  This Inner Loop Header: Depth=2
	v_add_co_u32_e32 v56, vcc, 0xfffff840, v16
	flat_load_ubyte v48, v[16:17] nt
	s_nop 0
	v_addc_co_u32_e32 v57, vcc, -1, v17, vcc
	v_add_co_u32_e32 v0, vcc, 0xfffff880, v16
	flat_load_ubyte v56, v[56:57] nt
	s_nop 0
	v_addc_co_u32_e32 v1, vcc, -1, v17, vcc
	;; [unrolled: 4-line block ×31, first 2 shown]
	flat_load_ubyte v51, v[28:29] nt
	v_sub_u32_e32 v22, v22, v34
	v_cmp_gt_i32_e32 vcc, 1, v22
	s_or_b64 s[34:35], vcc, s[34:35]
	v_lshl_add_u64 v[16:17], v[16:17], 0, v[40:41]
	s_waitcnt vmcnt(0) lgkmcnt(0)
	flat_store_byte v[10:11], v48 offset:1984 nt
	flat_store_byte v[10:11], v56 nt
	flat_store_byte v[10:11], v57 offset:64 nt
	flat_store_byte v[10:11], v30 offset:128 nt
	;; [unrolled: 1-line block ×30, first 2 shown]
	flat_store_byte v[12:13], v56 nt
	flat_store_byte v[12:13], v57 offset:64 nt
	flat_store_byte v[12:13], v30 offset:128 nt
	;; [unrolled: 1-line block ×31, first 2 shown]
	v_lshl_add_u64 v[10:11], v[10:11], 0, v[40:41]
	v_lshl_add_u64 v[12:13], v[12:13], 0, v[40:41]
	s_andn2_b64 exec, exec, s[34:35]
	s_cbranch_execnz .LBB12_231
; %bb.232:                              ;   in Loop: Header=BB12_79 Depth=1
	s_or_b64 exec, exec, s[34:35]
	v_accvgpr_mov_b32 a45, a3
	v_accvgpr_read_b32 v53, a5
	v_accvgpr_read_b32 v55, a15
	;; [unrolled: 1-line block ×10, first 2 shown]
	v_accvgpr_mov_b32 a44, a2
	v_accvgpr_read_b32 v52, a4
	v_accvgpr_read_b32 v38, a12
	;; [unrolled: 1-line block ×6, first 2 shown]
	v_mov_b32_e32 v39, 1
	v_accvgpr_read_b32 v26, a22
	v_accvgpr_read_b32 v28, a24
	;; [unrolled: 1-line block ×14, first 2 shown]
.LBB12_233:                             ;   in Loop: Header=BB12_79 Depth=1
	s_or_b64 exec, exec, s[30:31]
	v_lshlrev_b32_e32 v0, 11, v0
	v_cmp_ne_u32_e32 vcc, v3, v0
	s_and_b64 exec, exec, vcc
	s_cbranch_execz .LBB12_239
; %bb.234:                              ;   in Loop: Header=BB12_79 Depth=1
	v_lshrrev_b32_e32 v1, 26, v1
	v_add_u32_e32 v1, v13, v1
	v_and_b32_e32 v1, 0xffffffc0, v1
	v_sub_u32_e32 v1, v13, v1
	v_lshlrev_b32_e32 v2, 6, v22
	v_sub_u32_e32 v1, v1, v2
	v_add_u32_e32 v1, v0, v1
	v_sub_u32_e32 v0, v3, v1
	v_cmp_lt_i32_e32 vcc, 0, v0
	s_and_b64 exec, exec, vcc
	s_cbranch_execz .LBB12_239
; %bb.235:                              ;   in Loop: Header=BB12_79 Depth=1
	s_trap 2
	ds_read_b64 v[10:11], v0
	ds_read_b128 v[2:5], v0
	v_add_u32_e32 v14, v1, v12
	v_ashrrev_i32_e32 v15, 31, v14
	s_mov_b64 s[62:63], 0
	s_waitcnt lgkmcnt(0)
	v_lshl_add_u64 v[10:11], v[10:11], 0, v[14:15]
	v_lshl_add_u64 v[12:13], v[2:3], 0, v[14:15]
	s_waitcnt vmcnt(0)
	v_lshl_add_u64 v[16:17], v[4:5], 0, v[14:15]
	v_accvgpr_read_b32 v4, a32
	v_accvgpr_read_b32 v14, a30
	;; [unrolled: 1-line block ×4, first 2 shown]
.LBB12_236:                             ;   Parent Loop BB12_79 Depth=1
                                        ; =>  This Loop Header: Depth=2
                                        ;       Child Loop BB12_237 Depth 3
	flat_load_ubyte v1, v[10:11] nt
	s_mov_b64 s[64:65], -1
	s_mov_b64 s[66:67], 0
	s_waitcnt vmcnt(0)
.LBB12_237:                             ;   Parent Loop BB12_79 Depth=1
                                        ;     Parent Loop BB12_236 Depth=2
                                        ; =>    This Inner Loop Header: Depth=3
	s_cmp_eq_u32 s66, 1
	s_cselect_b64 vcc, -1, 0
	v_cndmask_b32_e32 v3, v13, v17, vcc
	s_cmp_eq_u32 s66, 0
	v_cndmask_b32_e32 v2, v12, v16, vcc
	s_waitcnt lgkmcnt(0)
	flat_store_byte v[2:3], v1 nt
	v_lshl_add_u64 v[2:3], v[2:3], 0, 64
	s_cselect_b64 s[30:31], -1, 0
	s_and_b64 s[34:35], exec, s[64:65]
	s_mov_b64 s[66:67], 1
	s_mov_b64 s[64:65], 0
	v_cndmask_b32_e32 v17, v17, v3, vcc
	v_cndmask_b32_e32 v16, v16, v2, vcc
	v_cndmask_b32_e64 v13, v13, v3, s[30:31]
	v_cndmask_b32_e64 v12, v12, v2, s[30:31]
	s_mov_b64 vcc, s[34:35]
	s_cbranch_vccnz .LBB12_237
; %bb.238:                              ;   in Loop: Header=BB12_236 Depth=2
	v_sub_u32_e32 v0, v0, v45
	v_cmp_gt_i32_e32 vcc, 1, v0
	v_lshl_add_u64 v[12:13], v[12:13], 0, v[24:25]
	v_lshl_add_u64 v[16:17], v[16:17], 0, v[24:25]
	s_or_b64 s[62:63], vcc, s[62:63]
	v_lshl_add_u64 v[10:11], v[50:51], 0, v[10:11]
	s_andn2_b64 exec, exec, s[62:63]
	s_cbranch_execnz .LBB12_236
.LBB12_239:                             ;   in Loop: Header=BB12_79 Depth=1
	s_or_b64 exec, exec, s[36:37]
	scratch_load_dwordx2 v[16:17], off, s33 offset:136 ; 8-byte Folded Reload
	s_branch .LBB12_274
.LBB12_240:                             ;   in Loop: Header=BB12_79 Depth=1
	s_and_saveexec_b64 s[34:35], s[10:11]
	s_cbranch_execnz .LBB12_275
.LBB12_241:                             ;   in Loop: Header=BB12_79 Depth=1
	s_or_b64 exec, exec, s[34:35]
                                        ; implicit-def: $vgpr0
	s_and_saveexec_b64 vcc, s[24:25]
	s_xor_b64 s[34:35], exec, vcc
	s_cbranch_execz .LBB12_381
.LBB12_242:                             ;   in Loop: Header=BB12_79 Depth=1
	v_and_b32_e32 v1, 16, v62
	v_cmp_ne_u32_e32 vcc, 0, v1
	v_and_b32_e32 v0, 16, v62
	s_and_b64 s[30:31], vcc, s[30:31]
	s_and_saveexec_b64 vcc, s[30:31]
	s_cbranch_execz .LBB12_244
; %bb.243:                              ;   in Loop: Header=BB12_79 Depth=1
	v_mov_b32_e32 v0, 1
	buffer_wbl2 sc1
	s_waitcnt vmcnt(0) lgkmcnt(0)
	buffer_inv sc1
.LBB12_244:                             ;   in Loop: Header=BB12_79 Depth=1
	s_or_b64 exec, exec, vcc
	s_andn2_saveexec_b64 s[30:31], s[34:35]
	s_cbranch_execz .LBB12_419
	s_branch .LBB12_382
.LBB12_245:                             ;   in Loop: Header=BB12_79 Depth=1
	s_cbranch_execz .LBB12_274
; %bb.246:                              ;   in Loop: Header=BB12_79 Depth=1
	s_mov_b64 s[30:31], -1
	s_and_saveexec_b64 s[34:35], s[18:19]
	s_cbranch_execz .LBB12_248
; %bb.247:                              ;   in Loop: Header=BB12_79 Depth=1
	ds_read_b32 v0, v0 offset:720
	s_waitcnt lgkmcnt(0)
	v_and_b32_e32 v0, 15, v0
	v_cmp_eq_u32_e32 vcc, 0, v0
	s_orn2_b64 s[30:31], vcc, exec
.LBB12_248:                             ;   in Loop: Header=BB12_79 Depth=1
	s_or_b64 exec, exec, s[34:35]
	s_and_saveexec_b64 s[34:35], s[22:23]
	s_cbranch_execz .LBB12_250
; %bb.249:                              ;   in Loop: Header=BB12_79 Depth=1
	ds_read_b32 v0, v0 offset:784
	s_waitcnt lgkmcnt(0)
	v_and_b32_e32 v0, 15, v0
	v_cmp_eq_u32_e32 vcc, 0, v0
	s_and_b64 vcc, s[30:31], vcc
	s_andn2_b64 s[30:31], s[30:31], exec
	s_and_b64 vcc, vcc, exec
	s_or_b64 s[30:31], s[30:31], vcc
.LBB12_250:                             ;   in Loop: Header=BB12_79 Depth=1
	s_or_b64 exec, exec, s[34:35]
	s_xor_b64 vcc, s[30:31], -1
	v_cndmask_b32_e64 v0, 0, 1, vcc
	s_mov_b64 s[36:37], -1
	;;#ASMSTART
	;;#ASMEND
	v_mov_b32_e32 v22, 0
	v_cmp_ne_u32_e32 vcc, 0, v0
	v_mov_b32_e32 v48, v30
	v_mov_b32_e32 v18, v44
	;; [unrolled: 1-line block ×3, first 2 shown]
	s_cbranch_vccnz .LBB12_264
; %bb.251:                              ;   in Loop: Header=BB12_79 Depth=1
	v_ashrrev_i32_e32 v0, 31, v30
	v_lshrrev_b32_e32 v0, 19, v0
	v_add_u32_e32 v0, v30, v0
	v_ashrrev_i32_e32 v0, 13, v0
	v_sub_u32_e32 v1, v0, v29
	v_cmp_lt_i32_e32 vcc, 0, v1
	s_and_saveexec_b64 s[34:35], vcc
	s_cbranch_execz .LBB12_255
; %bb.252:                              ;   in Loop: Header=BB12_79 Depth=1
	s_trap 2
	ds_read_b64 v[10:11], v0
	v_accvgpr_write_b32 a18, v58
	v_accvgpr_read_b32 v47, a37
	v_accvgpr_write_b32 a13, v57
	v_accvgpr_write_b32 a19, v59
	s_mov_b64 s[36:37], 0
	s_waitcnt lgkmcnt(0)
	v_mov_b64_e32 v[12:13], v[10:11]
	v_accvgpr_read_b32 v46, a36
.LBB12_253:                             ;   Parent Loop BB12_79 Depth=1
                                        ; =>  This Inner Loop Header: Depth=2
	s_waitcnt vmcnt(0)
	v_lshl_add_u64 v[18:19], v[16:17], 0, v[12:13]
	global_load_dwordx4 v[2:5], v[18:19], off nt
	global_load_dwordx4 v[14:17], v[18:19], off offset:1024 nt
	global_load_dwordx4 v[22:25], v[18:19], off offset:2048 nt
	global_load_dwordx4 v[26:29], v[18:19], off offset:3072 nt
	v_add_co_u32_e32 v18, vcc, 0x1000, v18
	v_sub_u32_e32 v1, v1, v34
	s_nop 0
	v_addc_co_u32_e32 v19, vcc, 0, v19, vcc
	global_load_dwordx4 v[48:51], v[18:19], off nt
	global_load_dwordx4 v[52:55], v[18:19], off offset:1024 nt
	global_load_dwordx4 v[42:45], v[18:19], off offset:2048 nt
	;; [unrolled: 1-line block ×3, first 2 shown]
	s_nop 0
	scratch_load_dwordx2 v[18:19], off, s33 offset:136 ; 8-byte Folded Reload
	v_cmp_gt_i32_e64 s[30:31], 1, v1
	v_lshl_add_u64 v[12:13], v[12:13], 0, v[46:47]
	s_or_b64 s[36:37], s[30:31], s[36:37]
	s_waitcnt vmcnt(0)
	v_lshl_add_u64 v[18:19], v[18:19], 0, v[10:11]
	global_store_dwordx4 v[18:19], v[2:5], off nt
	global_store_dwordx4 v[18:19], v[14:17], off offset:1024 nt
	scratch_load_dwordx2 v[16:17], off, s33 offset:136 ; 8-byte Folded Reload
	v_lshl_add_u64 v[10:11], v[10:11], 0, v[46:47]
	v_add_co_u32_e32 v38, vcc, 0x1000, v18
	s_nop 1
	v_addc_co_u32_e32 v39, vcc, 0, v19, vcc
	global_store_dwordx4 v[18:19], v[22:25], off offset:2048 nt
	global_store_dwordx4 v[18:19], v[26:29], off offset:3072 nt
	global_store_dwordx4 v[38:39], v[48:51], off nt
	global_store_dwordx4 v[38:39], v[52:55], off offset:1024 nt
	global_store_dwordx4 v[38:39], v[42:45], off offset:2048 nt
	;; [unrolled: 1-line block ×3, first 2 shown]
	s_andn2_b64 exec, exec, s[36:37]
	s_cbranch_execnz .LBB12_253
; %bb.254:                              ;   in Loop: Header=BB12_79 Depth=1
	s_or_b64 exec, exec, s[36:37]
	v_accvgpr_read_b32 v53, a5
	v_accvgpr_read_b32 v55, a15
	;; [unrolled: 1-line block ×18, first 2 shown]
	v_mov_b32_e32 v39, 1
	v_accvgpr_read_b32 v26, a22
	v_accvgpr_read_b32 v28, a24
	;; [unrolled: 1-line block ×8, first 2 shown]
.LBB12_255:                             ;   in Loop: Header=BB12_79 Depth=1
	s_or_b64 exec, exec, s[34:35]
	v_lshlrev_b32_e32 v0, 13, v0
	v_cmp_ne_u32_e32 vcc, v30, v0
	s_mov_b64 s[36:37], 0
	v_mov_b32_e32 v22, 0
                                        ; implicit-def: $vgpr48
                                        ; implicit-def: $vgpr18
                                        ; implicit-def: $vgpr2
	s_and_saveexec_b64 s[34:35], vcc
	s_cbranch_execz .LBB12_263
; %bb.256:                              ;   in Loop: Header=BB12_79 Depth=1
	v_lshlrev_b32_e32 v1, 6, v1
	v_accvgpr_read_b32 v2, a38
	v_sub_u32_e32 v1, v2, v1
	v_sub_u32_e32 v3, v30, v0
	v_ashrrev_i32_e32 v2, 31, v1
	v_lshrrev_b32_e32 v2, 26, v2
	v_ashrrev_i32_e32 v5, 31, v3
	v_add_u32_e32 v2, v1, v2
	v_lshrrev_b32_e32 v5, 22, v5
	v_ashrrev_i32_e32 v4, 6, v2
	v_and_b32_e32 v2, 0xffffffc0, v2
	v_add_u32_e32 v5, v3, v5
	v_sub_u32_e32 v1, v1, v2
	v_and_b32_e32 v14, 0xfffffc00, v5
	v_lshlrev_b32_e32 v2, 4, v1
	s_waitcnt vmcnt(0)
	v_sub_u32_e32 v16, v3, v14
	v_lshl_add_u32 v12, v4, 10, v2
	v_ashrrev_i32_e32 v10, 10, v5
	v_cmp_lt_i32_e32 vcc, 15, v16
	v_sub_u32_e32 v2, v3, v12
	s_nop 0
	v_addc_co_u32_e64 v3, s[30:31], 0, v10, vcc
	v_sub_u32_e32 v15, v3, v4
	v_cmp_lt_i32_e64 s[30:31], 15, v2
	s_and_saveexec_b64 s[36:37], s[30:31]
	s_cbranch_execz .LBB12_260
; %bb.257:                              ;   in Loop: Header=BB12_79 Depth=1
	s_trap 2
	ds_read_b64 v[10:11], v0
	v_add_u32_e32 v12, v12, v0
	v_ashrrev_i32_e32 v13, 31, v12
	s_mov_b64 s[62:63], 0
.LBB12_258:                             ;   Parent Loop BB12_79 Depth=1
                                        ; =>  This Inner Loop Header: Depth=2
	s_waitcnt lgkmcnt(0)
	v_lshl_add_u64 v[4:5], v[10:11], 0, v[12:13]
	global_load_dwordx4 v[22:25], v[4:5], off nt
	v_sub_u32_e32 v2, v2, v28
	v_cmp_gt_i32_e64 s[30:31], 16, v2
	v_sub_u32_e32 v15, v15, v34
	v_lshl_add_u64 v[12:13], v[12:13], 0, v[46:47]
	s_or_b64 s[62:63], s[30:31], s[62:63]
	s_waitcnt vmcnt(0)
	global_store_dwordx4 v[4:5], v[22:25], off nt
	s_andn2_b64 exec, exec, s[62:63]
	s_cbranch_execnz .LBB12_258
; %bb.259:                              ;   in Loop: Header=BB12_79 Depth=1
	s_or_b64 exec, exec, s[62:63]
	v_accvgpr_read_b32 v24, a26
	v_accvgpr_read_b32 v25, a27
.LBB12_260:                             ;   in Loop: Header=BB12_79 Depth=1
	s_or_b64 exec, exec, s[36:37]
	v_and_b32_e32 v10, 15, v30
	v_cndmask_b32_e32 v48, v16, v10, vcc
	s_mov_b64 s[36:37], 0
	v_mov_b32_e32 v22, 0
	v_cmp_ne_u32_e64 s[30:31], 0, v48
                                        ; implicit-def: $vgpr18
                                        ; implicit-def: $vgpr2
	s_mov_b64 s[62:63], exec
	v_accvgpr_read_b32 v4, a32
	s_and_b64 s[30:31], s[62:63], s[30:31]
	v_accvgpr_read_b32 v5, a33
	s_mov_b64 exec, s[30:31]
	s_cbranch_execz .LBB12_262
; %bb.261:                              ;   in Loop: Header=BB12_79 Depth=1
	v_sub_u32_e32 v2, v16, v10
	v_cndmask_b32_e32 v2, 0, v2, vcc
	v_cmp_lt_i32_e32 vcc, 0, v15
	v_add3_u32 v22, v14, v0, v2
	s_mov_b64 s[36:37], exec
	v_cndmask_b32_e32 v0, 0, v34, vcc
	v_sub_u32_e32 v0, v0, v15
	v_lshl_add_u32 v18, v0, 6, v1
	v_ashrrev_i32_e32 v0, 31, v18
	v_lshrrev_b32_e32 v0, 26, v0
	v_add_u32_e32 v0, v18, v0
	v_ashrrev_i32_e32 v2, 6, v0
.LBB12_262:                             ;   in Loop: Header=BB12_79 Depth=1
	s_or_b64 exec, exec, s[62:63]
	scratch_load_dwordx2 v[16:17], off, s33 offset:136 ; 8-byte Folded Reload
	v_accvgpr_read_b32 v14, a30
	s_and_b64 s[36:37], s[36:37], exec
	v_accvgpr_read_b32 v15, a31
.LBB12_263:                             ;   in Loop: Header=BB12_79 Depth=1
	s_or_b64 exec, exec, s[34:35]
.LBB12_264:                             ;   in Loop: Header=BB12_79 Depth=1
	s_and_saveexec_b64 s[30:31], s[36:37]
	s_cbranch_execz .LBB12_273
; %bb.265:                              ;   in Loop: Header=BB12_79 Depth=1
	v_ashrrev_i32_e32 v0, 31, v48
	v_lshrrev_b32_e32 v0, 21, v0
	v_add_u32_e32 v0, v48, v0
	v_ashrrev_i32_e32 v1, 11, v0
	v_sub_u32_e32 v0, v1, v2
	v_cmp_lt_i32_e32 vcc, 0, v0
	s_and_saveexec_b64 s[34:35], vcc
	s_cbranch_execz .LBB12_269
; %bb.266:                              ;   in Loop: Header=BB12_79 Depth=1
	v_ashrrev_i32_e32 v3, 31, v18
	s_trap 2
	ds_read_b64 v[10:11], v0
	v_lshrrev_b32_e32 v3, 26, v3
	v_add_u32_e32 v3, v18, v3
	v_and_b32_e32 v3, 0xffffffc0, v3
	v_sub_u32_e32 v3, v18, v3
	v_lshlrev_b32_e32 v2, 11, v2
	v_accvgpr_write_b32 a18, v58
	v_add3_u32 v12, v22, v3, v2
	v_accvgpr_write_b32 a39, v30
	v_accvgpr_write_b32 a13, v57
	;; [unrolled: 1-line block ×3, first 2 shown]
	v_ashrrev_i32_e32 v13, 31, v12
	s_mov_b64 s[36:37], 0
	s_waitcnt vmcnt(0) lgkmcnt(0)
	v_mov_b64_e32 v[16:17], v[10:11]
.LBB12_267:                             ;   Parent Loop BB12_79 Depth=1
                                        ; =>  This Inner Loop Header: Depth=2
	v_lshl_add_u64 v[2:3], v[12:13], 0, v[16:17]
	flat_load_ubyte v4, v[2:3] nt
	flat_load_ubyte v5, v[2:3] offset:64 nt
	flat_load_ubyte v14, v[2:3] offset:128 nt
	;; [unrolled: 1-line block ×30, first 2 shown]
	s_nop 0
	flat_load_ubyte v2, v[2:3] offset:1984 nt
	v_sub_u32_e32 v0, v0, v34
	v_cmp_gt_i32_e32 vcc, 1, v0
	v_lshl_add_u64 v[50:51], v[12:13], 0, v[10:11]
	v_lshl_add_u64 v[16:17], v[16:17], 0, v[40:41]
	;; [unrolled: 1-line block ×3, first 2 shown]
	s_or_b64 s[36:37], vcc, s[36:37]
	s_waitcnt vmcnt(0) lgkmcnt(0)
	flat_store_byte v[50:51], v4 nt
	flat_store_byte v[50:51], v5 offset:64 nt
	flat_store_byte v[50:51], v14 offset:128 nt
	;; [unrolled: 1-line block ×31, first 2 shown]
	s_andn2_b64 exec, exec, s[36:37]
	s_cbranch_execnz .LBB12_267
; %bb.268:                              ;   in Loop: Header=BB12_79 Depth=1
	s_or_b64 exec, exec, s[36:37]
	scratch_load_dwordx2 v[16:17], off, s33 offset:136 ; 8-byte Folded Reload
	v_accvgpr_mov_b32 a45, a3
	v_accvgpr_read_b32 v53, a5
	v_accvgpr_read_b32 v55, a15
	;; [unrolled: 1-line block ×10, first 2 shown]
	v_accvgpr_mov_b32 a44, a2
	v_accvgpr_read_b32 v52, a4
	v_accvgpr_read_b32 v44, a6
	;; [unrolled: 1-line block ×8, first 2 shown]
	v_mov_b32_e32 v39, 1
	v_accvgpr_read_b32 v26, a22
	v_accvgpr_read_b32 v28, a24
	v_accvgpr_read_b32 v25, a27
	v_accvgpr_read_b32 v15, a31
	v_accvgpr_read_b32 v29, a25
	v_accvgpr_read_b32 v5, a33
	v_accvgpr_read_b32 v50, a34
	v_accvgpr_read_b32 v46, a40
	v_accvgpr_read_b32 v30, a39
.LBB12_269:                             ;   in Loop: Header=BB12_79 Depth=1
	s_or_b64 exec, exec, s[34:35]
	v_lshlrev_b32_e32 v1, 11, v1
	v_cmp_ne_u32_e32 vcc, v48, v1
	s_and_b64 exec, exec, vcc
	s_cbranch_execz .LBB12_273
; %bb.270:                              ;   in Loop: Header=BB12_79 Depth=1
	v_ashrrev_i32_e32 v2, 31, v18
	v_lshrrev_b32_e32 v2, 26, v2
	v_add_u32_e32 v2, v18, v2
	v_and_b32_e32 v2, 0xffffffc0, v2
	v_sub_u32_e32 v2, v18, v2
	v_lshlrev_b32_e32 v0, 6, v0
	v_sub_u32_e32 v0, v2, v0
	v_add_u32_e32 v1, v1, v0
	v_sub_u32_e32 v0, v48, v1
	v_cmp_lt_i32_e32 vcc, 0, v0
	s_and_b64 exec, exec, vcc
	s_cbranch_execz .LBB12_273
; %bb.271:                              ;   in Loop: Header=BB12_79 Depth=1
	s_trap 2
	ds_read_b64 v[10:11], v0
	v_add_u32_e32 v12, v1, v22
	v_ashrrev_i32_e32 v13, 31, v12
	s_mov_b64 s[34:35], 0
.LBB12_272:                             ;   Parent Loop BB12_79 Depth=1
                                        ; =>  This Inner Loop Header: Depth=2
	s_waitcnt lgkmcnt(0)
	v_lshl_add_u64 v[2:3], v[10:11], 0, v[12:13]
	flat_load_ubyte v1, v[2:3] nt
	v_sub_u32_e32 v0, v0, v45
	v_cmp_gt_i32_e32 vcc, 1, v0
	v_lshl_add_u64 v[12:13], v[12:13], 0, v[50:51]
	s_or_b64 s[34:35], vcc, s[34:35]
	s_waitcnt vmcnt(0) lgkmcnt(0)
	flat_store_byte v[2:3], v1 nt
	s_andn2_b64 exec, exec, s[34:35]
	s_cbranch_execnz .LBB12_272
.LBB12_273:                             ;   in Loop: Header=BB12_79 Depth=1
	s_or_b64 exec, exec, s[30:31]
.LBB12_274:                             ;   in Loop: Header=BB12_79 Depth=1
	v_cmp_lt_i32_e64 s[30:31], 0, v30
	s_and_saveexec_b64 s[34:35], s[10:11]
	s_cbranch_execz .LBB12_241
.LBB12_275:                             ;   in Loop: Header=BB12_79 Depth=1
	s_and_saveexec_b64 vcc, s[46:47]
	s_xor_b64 s[36:37], exec, vcc
	s_cbranch_execz .LBB12_378
; %bb.276:                              ;   in Loop: Header=BB12_79 Depth=1
	s_and_saveexec_b64 s[62:63], s[16:17]
	s_cbranch_execz .LBB12_377
; %bb.277:                              ;   in Loop: Header=BB12_79 Depth=1
	s_mov_b64 s[66:67], exec
	v_mbcnt_lo_u32_b32 v0, s66, 0
	v_mbcnt_hi_u32_b32 v0, s67, v0
	v_cmp_eq_u32_e32 vcc, 0, v0
	s_waitcnt lgkmcnt(0)
	s_and_saveexec_b64 s[64:65], vcc
	s_cbranch_execz .LBB12_279
; %bb.278:                              ;   in Loop: Header=BB12_79 Depth=1
	s_bcnt1_i32_b64 vcc_lo, s[66:67]
	v_mov_b32_e32 v56, vcc_lo
	ds_add_u64 v0, v[56:57]
	s_trap 2
.LBB12_279:                             ;   in Loop: Header=BB12_79 Depth=1
	s_or_b64 exec, exec, s[64:65]
	s_trap 2
	ds_read_b64 v[0:1], v0
	v_lshl_add_u64 v[58:59], v[58:59], 0, v[34:35]
	s_waitcnt lgkmcnt(0)
	v_cmp_lt_u64_e32 vcc, v[0:1], v[58:59]
	s_and_saveexec_b64 s[64:65], vcc
	s_cbranch_execz .LBB12_376
; %bb.280:                              ;   in Loop: Header=BB12_79 Depth=1
	s_mov_b32 s76, 0
	s_mov_b64 s[66:67], 0
                                        ; implicit-def: $sgpr68_sgpr69
                                        ; implicit-def: $sgpr70_sgpr71
	s_branch .LBB12_282
.LBB12_281:                             ;   in Loop: Header=BB12_282 Depth=2
	s_or_b64 exec, exec, s[74:75]
	s_and_b64 vcc, exec, vcc
	s_or_b64 s[66:67], vcc, s[66:67]
	s_andn2_b64 vcc, s[68:69], exec
	s_and_b64 s[68:69], s[70:71], exec
	s_or_b64 s[68:69], vcc, s[68:69]
	s_andn2_b64 exec, exec, s[66:67]
	s_cbranch_execz .LBB12_374
.LBB12_282:                             ;   Parent Loop BB12_79 Depth=1
                                        ; =>  This Inner Loop Header: Depth=2
	s_add_i32 s76, s76, 1
	s_cmpk_lg_i32 s76, 0x2710
	s_cselect_b64 s[72:73], -1, 0
	s_and_b64 vcc, exec, s[72:73]
                                        ; implicit-def: $sgpr74_sgpr75
	s_cbranch_vccnz .LBB12_284
; %bb.283:                              ;   in Loop: Header=BB12_282 Depth=2
	s_trap 2
	ds_read_b64 v[0:1], v0
	s_andn2_b64 s[72:73], s[72:73], exec
	s_mov_b32 s76, 0
	s_mov_b64 s[74:75], -1
	s_waitcnt vmcnt(0) lgkmcnt(0)
	flat_load_dword v0, v[0:1] sc0 sc1
	s_waitcnt vmcnt(0) lgkmcnt(0)
	buffer_inv sc0 sc1
	v_cmp_eq_u32_e32 vcc, 0, v0
	s_and_b64 vcc, vcc, exec
	s_or_b64 s[72:73], s[72:73], vcc
.LBB12_284:                             ;   in Loop: Header=BB12_282 Depth=2
	s_andn2_b64 s[70:71], s[70:71], exec
	s_and_b64 s[74:75], s[74:75], exec
	s_mov_b64 vcc, -1
	s_or_b64 s[70:71], s[70:71], s[74:75]
	s_and_saveexec_b64 s[74:75], s[72:73]
	s_cbranch_execz .LBB12_281
; %bb.285:                              ;   in Loop: Header=BB12_282 Depth=2
	s_sleep 1
	s_trap 2
	ds_read_b64 v[0:1], v0
	s_andn2_b64 s[70:71], s[70:71], exec
	s_waitcnt lgkmcnt(0)
	v_cmp_ge_u64_e32 vcc, v[0:1], v[58:59]
	s_orn2_b64 vcc, vcc, exec
	s_branch .LBB12_281
.LBB12_286:                             ;   in Loop: Header=BB12_79 Depth=1
	s_or_b64 exec, exec, s[66:67]
	s_and_saveexec_b64 vcc, s[68:69]
	s_xor_b64 vcc, exec, vcc
	s_cbranch_execz .LBB12_288
; %bb.287:                              ;   in Loop: Header=BB12_79 Depth=1
	ds_write_b32 v0, v39
	s_trap 2
.LBB12_288:                             ;   in Loop: Header=BB12_79 Depth=1
	s_or_b64 exec, exec, s[64:65]
	;;#ASMSTART
	s_wakeup
	;;#ASMEND
.LBB12_289:                             ;   in Loop: Header=BB12_79 Depth=1
	s_or_b64 exec, exec, s[36:37]
.LBB12_290:                             ;   in Loop: Header=BB12_79 Depth=1
	s_andn2_saveexec_b64 vcc, s[34:35]
	s_cbranch_execz .LBB12_292
; %bb.291:                              ;   in Loop: Header=BB12_79 Depth=1
	s_waitcnt lgkmcnt(0)
	s_barrier
.LBB12_292:                             ;   in Loop: Header=BB12_79 Depth=1
	s_or_b64 exec, exec, vcc
.LBB12_293:                             ;   in Loop: Header=BB12_79 Depth=1
	s_or_b64 exec, exec, s[30:31]
	s_trap 2
	ds_read_b64 v[0:1], v0
	s_mov_b64 s[30:31], 0
	s_waitcnt lgkmcnt(0)
	v_readfirstlane_b32 vcc_lo, v0
	v_readfirstlane_b32 vcc_hi, v1
	s_cmp_eq_u64 vcc, 0
	s_cselect_b64 vcc, -1, 0
	s_or_b64 vcc, vcc, vcc
	s_and_b64 vcc, exec, vcc
	s_cbranch_vccnz .LBB12_327
; %bb.294:                              ;   in Loop: Header=BB12_79 Depth=1
	s_trap 2
	ds_read_b64 v[0:1], v0
	v_cmp_eq_u32_e64 s[30:31], 0, v10
	s_waitcnt lgkmcnt(0)
	v_cmp_ne_u64_e32 vcc, 0, v[0:1]
	v_cndmask_b32_e64 v30, 0, v60, s[30:31]
	s_cbranch_vccz .LBB12_333
; %bb.295:                              ;   in Loop: Header=BB12_79 Depth=1
	s_mov_b64 s[34:35], -1
	s_and_saveexec_b64 s[30:31], s[22:23]
	s_cbranch_execz .LBB12_297
; %bb.296:                              ;   in Loop: Header=BB12_79 Depth=1
	ds_read_b32 v0, v0 offset:720
	s_waitcnt lgkmcnt(0)
	v_and_b32_e32 v0, 15, v0
	v_cmp_eq_u32_e32 vcc, 0, v0
	s_orn2_b64 s[34:35], vcc, exec
.LBB12_297:                             ;   in Loop: Header=BB12_79 Depth=1
	s_or_b64 exec, exec, s[30:31]
	s_and_saveexec_b64 s[30:31], s[20:21]
	s_cbranch_execz .LBB12_299
; %bb.298:                              ;   in Loop: Header=BB12_79 Depth=1
	ds_read_b32 v0, v0 offset:784
	s_waitcnt lgkmcnt(0)
	v_and_b32_e32 v0, 15, v0
	v_cmp_eq_u32_e32 vcc, 0, v0
	s_and_b64 vcc, s[34:35], vcc
	s_andn2_b64 s[34:35], s[34:35], exec
	s_and_b64 vcc, vcc, exec
	s_or_b64 s[34:35], s[34:35], vcc
.LBB12_299:                             ;   in Loop: Header=BB12_79 Depth=1
	s_or_b64 exec, exec, s[30:31]
	s_xor_b64 vcc, s[34:35], -1
	v_cndmask_b32_e64 v0, 0, 1, vcc
	s_mov_b64 s[30:31], -1
	;;#ASMSTART
	;;#ASMEND
	s_waitcnt vmcnt(0)
	v_mov_b32_e32 v16, 0
	v_cmp_ne_u32_e32 vcc, 0, v0
	v_mov_b32_e32 v3, v30
	v_mov_b32_e32 v17, v44
	;; [unrolled: 1-line block ×3, first 2 shown]
	s_cbranch_vccnz .LBB12_315
; %bb.300:                              ;   in Loop: Header=BB12_79 Depth=1
	v_ashrrev_i32_e32 v0, 31, v30
	v_lshrrev_b32_e32 v0, 20, v0
	v_add_u32_e32 v0, v30, v0
	v_ashrrev_i32_e32 v1, 12, v0
	v_sub_u32_e32 v0, v1, v29
	v_cmp_lt_i32_e32 vcc, 0, v0
	s_and_saveexec_b64 s[30:31], vcc
	s_cbranch_execz .LBB12_304
; %bb.301:                              ;   in Loop: Header=BB12_79 Depth=1
	s_trap 2
	ds_read_b64 v[10:11], v0
	v_mov_b64_e32 v[18:19], v[4:5]
	ds_read_b128 v[2:5], v0
	v_accvgpr_read_b32 v16, a42
	v_accvgpr_read_b32 v17, a43
	s_waitcnt lgkmcnt(1)
	v_lshl_add_u64 v[10:11], v[10:11], 0, v[16:17]
	s_mov_b64 s[34:35], 0
	s_waitcnt lgkmcnt(0)
	v_lshl_add_u64 v[12:13], v[2:3], 0, v[16:17]
	v_lshl_add_u64 v[16:17], v[4:5], 0, v[16:17]
.LBB12_302:                             ;   Parent Loop BB12_79 Depth=1
                                        ; =>  This Inner Loop Header: Depth=2
	global_load_dwordx4 v[2:5], v[10:11], off nt
	global_load_dwordx4 v[22:25], v[10:11], off offset:1024 nt
	global_load_dwordx4 v[26:29], v[10:11], off offset:2048 nt
	;; [unrolled: 1-line block ×3, first 2 shown]
	v_sub_u32_e32 v0, v0, v34
	v_cmp_gt_i32_e32 vcc, 1, v0
	v_lshl_add_u64 v[10:11], v[10:11], 0, v[18:19]
	s_or_b64 s[34:35], vcc, s[34:35]
	s_waitcnt vmcnt(3)
	global_store_dwordx4 v[12:13], v[2:5], off nt
	s_waitcnt vmcnt(3)
	global_store_dwordx4 v[12:13], v[22:25], off offset:1024 nt
	s_waitcnt vmcnt(3)
	global_store_dwordx4 v[12:13], v[26:29], off offset:2048 nt
	;; [unrolled: 2-line block ×3, first 2 shown]
	global_store_dwordx4 v[16:17], v[2:5], off nt
	global_store_dwordx4 v[16:17], v[22:25], off offset:1024 nt
	global_store_dwordx4 v[16:17], v[26:29], off offset:2048 nt
	;; [unrolled: 1-line block ×3, first 2 shown]
	v_lshl_add_u64 v[12:13], v[12:13], 0, v[18:19]
	v_lshl_add_u64 v[16:17], v[16:17], 0, v[18:19]
	s_andn2_b64 exec, exec, s[34:35]
	s_cbranch_execnz .LBB12_302
; %bb.303:                              ;   in Loop: Header=BB12_79 Depth=1
	s_or_b64 exec, exec, s[34:35]
	v_accvgpr_read_b32 v27, a23
	v_accvgpr_read_b32 v24, a26
	v_accvgpr_read_b32 v51, a35
	v_accvgpr_read_b32 v26, a22
	v_accvgpr_read_b32 v28, a24
	v_accvgpr_read_b32 v25, a27
	v_accvgpr_read_b32 v29, a25
	v_mov_b64_e32 v[4:5], v[18:19]
	v_accvgpr_read_b32 v50, a34
.LBB12_304:                             ;   in Loop: Header=BB12_79 Depth=1
	s_or_b64 exec, exec, s[30:31]
	v_lshlrev_b32_e32 v18, 12, v1
	v_cmp_ne_u32_e32 vcc, v30, v18
	s_mov_b64 s[30:31], 0
	v_mov_b32_e32 v16, 0
                                        ; implicit-def: $vgpr3
                                        ; implicit-def: $vgpr17
                                        ; implicit-def: $vgpr2
	s_and_saveexec_b64 s[64:65], vcc
	s_cbranch_execz .LBB12_314
; %bb.305:                              ;   in Loop: Header=BB12_79 Depth=1
	v_lshlrev_b32_e32 v0, 6, v0
	v_accvgpr_read_b32 v1, a38
	v_sub_u32_e32 v0, v1, v0
	v_ashrrev_i32_e32 v1, 31, v0
	v_lshrrev_b32_e32 v1, 26, v1
	v_add_u32_e32 v1, v0, v1
	v_ashrrev_i32_e32 v4, 6, v1
	v_and_b32_e32 v1, 0xffffffc0, v1
	v_sub_u32_e32 v1, v0, v1
	v_sub_u32_e32 v3, v30, v18
	v_lshlrev_b32_e32 v0, 4, v1
	v_lshl_add_u32 v10, v4, 10, v0
	v_ashrrev_i32_e32 v0, 31, v3
	v_lshrrev_b32_e32 v0, 22, v0
	v_add_u32_e32 v0, v3, v0
	v_and_b32_e32 v19, 0xfffffc00, v0
	v_ashrrev_i32_e32 v5, 10, v0
	v_sub_u32_e32 v0, v3, v19
	v_cmp_lt_i32_e64 s[30:31], 15, v0
	v_sub_u32_e32 v2, v3, v10
	s_nop 0
	v_addc_co_u32_e64 v3, vcc, 0, v5, s[30:31]
	v_sub_u32_e32 v22, v3, v4
	v_cmp_lt_i32_e32 vcc, 15, v2
	s_and_saveexec_b64 s[66:67], vcc
	s_cbranch_execz .LBB12_311
; %bb.306:                              ;   in Loop: Header=BB12_79 Depth=1
	s_trap 2
	ds_read_b64 v[4:5], v0
	ds_read_b128 v[12:15], v0
	v_add_u32_e32 v10, v10, v18
	v_ashrrev_i32_e32 v11, 31, v10
	v_mov_b32_e32 v23, v57
	s_waitcnt lgkmcnt(1)
	v_lshl_add_u64 v[16:17], v[4:5], 0, v[10:11]
	s_waitcnt lgkmcnt(0)
	v_lshl_add_u64 v[56:57], v[12:13], 0, v[10:11]
	v_lshl_add_u64 v[50:51], v[14:15], 0, v[10:11]
	s_mov_b64 s[68:69], 0
.LBB12_307:                             ;   Parent Loop BB12_79 Depth=1
                                        ; =>  This Loop Header: Depth=2
                                        ;       Child Loop BB12_308 Depth 3
	global_load_dwordx4 v[10:13], v[16:17], off nt
	s_mov_b64 s[72:73], -1
	s_mov_b64 s[70:71], 0
	s_waitcnt vmcnt(0)
.LBB12_308:                             ;   Parent Loop BB12_79 Depth=1
                                        ;     Parent Loop BB12_307 Depth=2
                                        ; =>    This Inner Loop Header: Depth=3
	s_cmp_eq_u32 s70, 0
	s_cselect_b64 s[34:35], -1, 0
	s_cmp_eq_u32 s70, 1
	s_cselect_b64 s[36:37], -1, 0
	v_cndmask_b32_e64 v3, 0, 1, s[72:73]
	v_cndmask_b32_e64 v5, v57, v51, s[36:37]
	;; [unrolled: 1-line block ×3, first 2 shown]
	v_cmp_ne_u32_e32 vcc, 1, v3
	global_store_dwordx4 v[4:5], v[10:13], off nt
	v_lshl_add_u64 v[4:5], v[4:5], 0, s[48:49]
	s_mov_b64 s[72:73], 0
	s_mov_b64 s[70:71], 1
	s_and_b64 vcc, exec, vcc
	v_cndmask_b32_e64 v51, v51, v5, s[36:37]
	v_cndmask_b32_e64 v50, v50, v4, s[36:37]
	;; [unrolled: 1-line block ×4, first 2 shown]
	s_cbranch_vccz .LBB12_308
; %bb.309:                              ;   in Loop: Header=BB12_307 Depth=2
	v_accvgpr_read_b32 v4, a28
	v_sub_u32_e32 v2, v2, v28
	v_accvgpr_read_b32 v5, a29
	v_cmp_gt_i32_e32 vcc, 16, v2
	v_lshl_add_u64 v[56:57], v[56:57], 0, v[4:5]
	v_lshl_add_u64 v[50:51], v[50:51], 0, v[4:5]
	;; [unrolled: 1-line block ×3, first 2 shown]
	s_or_b64 s[68:69], vcc, s[68:69]
	v_sub_u32_e32 v22, v22, v34
	s_andn2_b64 exec, exec, s[68:69]
	s_cbranch_execnz .LBB12_307
; %bb.310:                              ;   in Loop: Header=BB12_79 Depth=1
	s_or_b64 exec, exec, s[68:69]
	v_accvgpr_read_b32 v14, a30
	v_accvgpr_read_b32 v51, a35
	v_mov_b32_e32 v57, v23
	v_accvgpr_read_b32 v15, a31
	v_accvgpr_read_b32 v50, a34
.LBB12_311:                             ;   in Loop: Header=BB12_79 Depth=1
	s_or_b64 exec, exec, s[66:67]
	v_and_b32_e32 v10, 15, v30
	v_cndmask_b32_e64 v3, v0, v10, s[30:31]
	s_mov_b64 s[34:35], 0
	v_mov_b32_e32 v16, 0
	v_cmp_ne_u32_e32 vcc, 0, v3
                                        ; implicit-def: $vgpr17
                                        ; implicit-def: $vgpr2
	s_mov_b64 s[36:37], exec
	v_accvgpr_read_b32 v4, a32
	s_and_b64 vcc, s[36:37], vcc
	v_accvgpr_read_b32 v5, a33
	s_mov_b64 exec, vcc
	s_cbranch_execz .LBB12_313
; %bb.312:                              ;   in Loop: Header=BB12_79 Depth=1
	v_sub_u32_e32 v0, v0, v10
	v_cndmask_b32_e64 v0, 0, v0, s[30:31]
	v_cmp_lt_i32_e32 vcc, 0, v22
	v_add3_u32 v16, v19, v18, v0
	s_mov_b64 s[34:35], exec
	v_cndmask_b32_e32 v0, 0, v34, vcc
	v_sub_u32_e32 v0, v0, v22
	v_lshl_add_u32 v17, v0, 6, v1
	v_ashrrev_i32_e32 v0, 31, v17
	v_lshrrev_b32_e32 v0, 26, v0
	v_add_u32_e32 v0, v17, v0
	v_ashrrev_i32_e32 v2, 6, v0
.LBB12_313:                             ;   in Loop: Header=BB12_79 Depth=1
	s_or_b64 exec, exec, s[36:37]
	s_and_b64 s[30:31], s[34:35], exec
.LBB12_314:                             ;   in Loop: Header=BB12_79 Depth=1
	s_or_b64 exec, exec, s[64:65]
.LBB12_315:                             ;   in Loop: Header=BB12_79 Depth=1
	s_and_saveexec_b64 s[36:37], s[30:31]
	s_cbranch_execz .LBB12_326
; %bb.316:                              ;   in Loop: Header=BB12_79 Depth=1
	v_ashrrev_i32_e32 v0, 31, v3
	v_lshrrev_b32_e32 v0, 21, v0
	v_add_u32_e32 v0, v3, v0
	v_ashrrev_i32_e32 v0, 11, v0
	v_sub_u32_e32 v22, v0, v2
	v_cmp_lt_i32_e32 vcc, 0, v22
	v_ashrrev_i32_e32 v1, 31, v17
	s_and_saveexec_b64 s[30:31], vcc
	s_cbranch_execz .LBB12_320
; %bb.317:                              ;   in Loop: Header=BB12_79 Depth=1
	v_accvgpr_write_b32 a50, v0
	v_lshrrev_b32_e32 v0, 26, v1
	v_add_u32_e32 v0, v17, v0
	v_accvgpr_write_b32 a47, v3
	s_trap 2
	v_accvgpr_write_b32 a49, v1
	v_and_b32_e32 v3, 0xffffffc0, v0
	ds_read_b64 v[0:1], v0
	v_sub_u32_e32 v3, v17, v3
	v_lshlrev_b32_e32 v2, 11, v2
	v_add3_u32 v2, v16, v3, v2
	v_accvgpr_write_b32 a18, v58
	s_waitcnt lgkmcnt(0)
	ds_read_b128 v[10:13], v0
	v_ashrrev_i32_e32 v3, 31, v2
	v_lshl_add_u64 v[0:1], v[0:1], 0, s[50:51]
	v_accvgpr_write_b32 a39, v30
	v_accvgpr_write_b32 a13, v57
	;; [unrolled: 1-line block ×5, first 2 shown]
	s_waitcnt lgkmcnt(0)
	v_lshl_add_u64 v[10:11], v[10:11], 0, v[2:3]
	v_lshl_add_u64 v[12:13], v[12:13], 0, v[2:3]
	;; [unrolled: 1-line block ×3, first 2 shown]
	s_mov_b64 s[34:35], 0
.LBB12_318:                             ;   Parent Loop BB12_79 Depth=1
                                        ; =>  This Inner Loop Header: Depth=2
	v_add_co_u32_e32 v56, vcc, 0xfffff840, v16
	flat_load_ubyte v48, v[16:17] nt
	s_nop 0
	v_addc_co_u32_e32 v57, vcc, -1, v17, vcc
	v_add_co_u32_e32 v0, vcc, 0xfffff880, v16
	flat_load_ubyte v56, v[56:57] nt
	s_nop 0
	v_addc_co_u32_e32 v1, vcc, -1, v17, vcc
	;; [unrolled: 4-line block ×31, first 2 shown]
	flat_load_ubyte v51, v[28:29] nt
	v_sub_u32_e32 v22, v22, v34
	v_cmp_gt_i32_e32 vcc, 1, v22
	s_or_b64 s[34:35], vcc, s[34:35]
	v_lshl_add_u64 v[16:17], v[16:17], 0, v[40:41]
	s_waitcnt vmcnt(0) lgkmcnt(0)
	flat_store_byte v[10:11], v48 offset:1984 nt
	flat_store_byte v[10:11], v56 nt
	flat_store_byte v[10:11], v57 offset:64 nt
	flat_store_byte v[10:11], v30 offset:128 nt
	;; [unrolled: 1-line block ×30, first 2 shown]
	flat_store_byte v[12:13], v56 nt
	flat_store_byte v[12:13], v57 offset:64 nt
	flat_store_byte v[12:13], v30 offset:128 nt
	flat_store_byte v[12:13], v18 offset:192 nt
	flat_store_byte v[12:13], v19 offset:256 nt
	flat_store_byte v[12:13], v26 offset:320 nt
	flat_store_byte v[12:13], v27 offset:384 nt
	flat_store_byte v[12:13], v52 offset:448 nt
	flat_store_byte v[12:13], v53 offset:512 nt
	flat_store_byte v[12:13], v24 offset:576 nt
	flat_store_byte v[12:13], v25 offset:640 nt
	flat_store_byte v[12:13], v1 offset:704 nt
	flat_store_byte v[12:13], v49 offset:768 nt
	flat_store_byte v[12:13], v46 offset:832 nt
	flat_store_byte v[12:13], v47 offset:896 nt
	flat_store_byte v[12:13], v23 offset:960 nt
	flat_store_byte v[12:13], v42 offset:1024 nt
	flat_store_byte v[12:13], v43 offset:1088 nt
	flat_store_byte v[12:13], v0 offset:1152 nt
	flat_store_byte v[12:13], v2 offset:1216 nt
	flat_store_byte v[12:13], v38 offset:1280 nt
	flat_store_byte v[12:13], v39 offset:1344 nt
	flat_store_byte v[12:13], v58 offset:1408 nt
	flat_store_byte v[12:13], v59 offset:1472 nt
	flat_store_byte v[12:13], v50 offset:1536 nt
	flat_store_byte v[12:13], v54 offset:1600 nt
	flat_store_byte v[12:13], v55 offset:1664 nt
	flat_store_byte v[12:13], v14 offset:1728 nt
	flat_store_byte v[12:13], v15 offset:1792 nt
	flat_store_byte v[12:13], v61 offset:1856 nt
	flat_store_byte v[12:13], v51 offset:1920 nt
	flat_store_byte v[12:13], v48 offset:1984 nt
	v_lshl_add_u64 v[10:11], v[10:11], 0, v[40:41]
	v_lshl_add_u64 v[12:13], v[12:13], 0, v[40:41]
	s_andn2_b64 exec, exec, s[34:35]
	s_cbranch_execnz .LBB12_318
; %bb.319:                              ;   in Loop: Header=BB12_79 Depth=1
	s_or_b64 exec, exec, s[34:35]
	v_accvgpr_mov_b32 a45, a3
	v_accvgpr_read_b32 v53, a5
	v_accvgpr_read_b32 v55, a15
	;; [unrolled: 1-line block ×10, first 2 shown]
	v_accvgpr_mov_b32 a44, a2
	v_accvgpr_read_b32 v52, a4
	v_accvgpr_read_b32 v38, a12
	;; [unrolled: 1-line block ×6, first 2 shown]
	v_mov_b32_e32 v39, 1
	v_accvgpr_read_b32 v26, a22
	v_accvgpr_read_b32 v28, a24
	;; [unrolled: 1-line block ×14, first 2 shown]
.LBB12_320:                             ;   in Loop: Header=BB12_79 Depth=1
	s_or_b64 exec, exec, s[30:31]
	v_lshlrev_b32_e32 v0, 11, v0
	v_cmp_ne_u32_e32 vcc, v3, v0
	s_and_b64 exec, exec, vcc
	s_cbranch_execz .LBB12_326
; %bb.321:                              ;   in Loop: Header=BB12_79 Depth=1
	v_lshrrev_b32_e32 v1, 26, v1
	v_add_u32_e32 v1, v17, v1
	v_and_b32_e32 v1, 0xffffffc0, v1
	v_sub_u32_e32 v1, v17, v1
	v_lshlrev_b32_e32 v2, 6, v22
	v_sub_u32_e32 v1, v1, v2
	v_add_u32_e32 v1, v0, v1
	v_sub_u32_e32 v0, v3, v1
	v_cmp_lt_i32_e32 vcc, 0, v0
	s_and_b64 exec, exec, vcc
	s_cbranch_execz .LBB12_326
; %bb.322:                              ;   in Loop: Header=BB12_79 Depth=1
	s_trap 2
	ds_read_b64 v[10:11], v0
	ds_read_b128 v[2:5], v0
	v_add_u32_e32 v14, v1, v16
	v_ashrrev_i32_e32 v15, 31, v14
	s_mov_b64 s[64:65], 0
	s_waitcnt lgkmcnt(0)
	v_lshl_add_u64 v[10:11], v[10:11], 0, v[14:15]
	v_lshl_add_u64 v[12:13], v[2:3], 0, v[14:15]
	;; [unrolled: 1-line block ×3, first 2 shown]
	v_accvgpr_read_b32 v4, a32
	v_accvgpr_read_b32 v14, a30
	v_accvgpr_read_b32 v5, a33
	v_accvgpr_read_b32 v15, a31
.LBB12_323:                             ;   Parent Loop BB12_79 Depth=1
                                        ; =>  This Loop Header: Depth=2
                                        ;       Child Loop BB12_324 Depth 3
	flat_load_ubyte v1, v[10:11] nt
	s_mov_b64 s[66:67], -1
	s_mov_b64 s[68:69], 0
	s_waitcnt vmcnt(0)
.LBB12_324:                             ;   Parent Loop BB12_79 Depth=1
                                        ;     Parent Loop BB12_323 Depth=2
                                        ; =>    This Inner Loop Header: Depth=3
	s_cmp_eq_u32 s68, 1
	s_cselect_b64 vcc, -1, 0
	v_cndmask_b32_e32 v3, v13, v17, vcc
	s_cmp_eq_u32 s68, 0
	v_cndmask_b32_e32 v2, v12, v16, vcc
	s_waitcnt lgkmcnt(0)
	flat_store_byte v[2:3], v1 nt
	v_lshl_add_u64 v[2:3], v[2:3], 0, 64
	s_cselect_b64 s[30:31], -1, 0
	s_and_b64 s[34:35], exec, s[66:67]
	s_mov_b64 s[68:69], 1
	s_mov_b64 s[66:67], 0
	v_cndmask_b32_e32 v17, v17, v3, vcc
	v_cndmask_b32_e32 v16, v16, v2, vcc
	v_cndmask_b32_e64 v13, v13, v3, s[30:31]
	v_cndmask_b32_e64 v12, v12, v2, s[30:31]
	s_mov_b64 vcc, s[34:35]
	s_cbranch_vccnz .LBB12_324
; %bb.325:                              ;   in Loop: Header=BB12_323 Depth=2
	v_sub_u32_e32 v0, v0, v45
	v_cmp_gt_i32_e32 vcc, 1, v0
	v_lshl_add_u64 v[12:13], v[12:13], 0, v[24:25]
	v_lshl_add_u64 v[16:17], v[16:17], 0, v[24:25]
	s_or_b64 s[64:65], vcc, s[64:65]
	v_lshl_add_u64 v[10:11], v[50:51], 0, v[10:11]
	s_andn2_b64 exec, exec, s[64:65]
	s_cbranch_execnz .LBB12_323
.LBB12_326:                             ;   in Loop: Header=BB12_79 Depth=1
	s_or_b64 exec, exec, s[36:37]
	scratch_load_dwordx2 v[16:17], off, s33 offset:136 ; 8-byte Folded Reload
	s_branch .LBB12_362
.LBB12_327:                             ;   in Loop: Header=BB12_79 Depth=1
	s_and_saveexec_b64 s[34:35], s[10:11]
	s_cbranch_execnz .LBB12_363
.LBB12_328:                             ;   in Loop: Header=BB12_79 Depth=1
	s_or_b64 exec, exec, s[34:35]
                                        ; implicit-def: $vgpr0
	s_and_saveexec_b64 vcc, s[24:25]
	s_xor_b64 s[34:35], exec, vcc
	s_cbranch_execz .LBB12_400
.LBB12_329:                             ;   in Loop: Header=BB12_79 Depth=1
	v_and_b32_e32 v1, 16, v62
	v_cmp_ne_u32_e32 vcc, 0, v1
	v_and_b32_e32 v0, 16, v62
	s_and_b64 s[30:31], vcc, s[30:31]
	s_and_saveexec_b64 vcc, s[30:31]
	s_cbranch_execz .LBB12_331
; %bb.330:                              ;   in Loop: Header=BB12_79 Depth=1
	v_mov_b32_e32 v0, 1
	buffer_wbl2 sc1
	s_waitcnt vmcnt(0) lgkmcnt(0)
	buffer_inv sc1
.LBB12_331:                             ;   in Loop: Header=BB12_79 Depth=1
	s_or_b64 exec, exec, vcc
	s_andn2_saveexec_b64 s[30:31], s[34:35]
	s_cbranch_execnz .LBB12_401
.LBB12_332:                             ;   in Loop: Header=BB12_79 Depth=1
	s_or_b64 exec, exec, s[30:31]
	v_cmp_ne_u32_e32 vcc, 0, v0
	s_and_saveexec_b64 s[30:31], vcc
	s_cbranch_execnz .LBB12_472
	s_branch .LBB12_475
.LBB12_333:                             ;   in Loop: Header=BB12_79 Depth=1
	s_cbranch_execz .LBB12_362
; %bb.334:                              ;   in Loop: Header=BB12_79 Depth=1
	s_mov_b64 s[30:31], -1
	s_and_saveexec_b64 s[34:35], s[22:23]
	s_cbranch_execz .LBB12_336
; %bb.335:                              ;   in Loop: Header=BB12_79 Depth=1
	ds_read_b32 v0, v0 offset:720
	s_waitcnt lgkmcnt(0)
	v_and_b32_e32 v0, 15, v0
	v_cmp_eq_u32_e32 vcc, 0, v0
	s_orn2_b64 s[30:31], vcc, exec
.LBB12_336:                             ;   in Loop: Header=BB12_79 Depth=1
	s_or_b64 exec, exec, s[34:35]
	s_and_saveexec_b64 s[34:35], s[22:23]
	s_cbranch_execz .LBB12_338
; %bb.337:                              ;   in Loop: Header=BB12_79 Depth=1
	ds_read_b32 v0, v0 offset:784
	s_waitcnt lgkmcnt(0)
	v_and_b32_e32 v0, 15, v0
	v_cmp_eq_u32_e32 vcc, 0, v0
	s_and_b64 vcc, s[30:31], vcc
	s_andn2_b64 s[30:31], s[30:31], exec
	s_and_b64 vcc, vcc, exec
	s_or_b64 s[30:31], s[30:31], vcc
.LBB12_338:                             ;   in Loop: Header=BB12_79 Depth=1
	s_or_b64 exec, exec, s[34:35]
	s_xor_b64 vcc, s[30:31], -1
	v_cndmask_b32_e64 v0, 0, 1, vcc
	s_mov_b64 s[36:37], -1
	;;#ASMSTART
	;;#ASMEND
	v_mov_b32_e32 v22, 0
	v_cmp_ne_u32_e32 vcc, 0, v0
	v_mov_b32_e32 v48, v30
	v_mov_b32_e32 v18, v44
	;; [unrolled: 1-line block ×3, first 2 shown]
	s_cbranch_vccnz .LBB12_352
; %bb.339:                              ;   in Loop: Header=BB12_79 Depth=1
	v_ashrrev_i32_e32 v0, 31, v30
	v_lshrrev_b32_e32 v0, 19, v0
	v_add_u32_e32 v0, v30, v0
	v_ashrrev_i32_e32 v0, 13, v0
	v_sub_u32_e32 v1, v0, v29
	v_cmp_lt_i32_e32 vcc, 0, v1
	s_and_saveexec_b64 s[34:35], vcc
	s_cbranch_execz .LBB12_343
; %bb.340:                              ;   in Loop: Header=BB12_79 Depth=1
	s_trap 2
	ds_read_b64 v[10:11], v0
	v_accvgpr_write_b32 a18, v58
	v_accvgpr_read_b32 v47, a37
	v_accvgpr_write_b32 a13, v57
	v_accvgpr_write_b32 a19, v59
	s_mov_b64 s[36:37], 0
	s_waitcnt lgkmcnt(0)
	v_mov_b64_e32 v[12:13], v[10:11]
	v_accvgpr_read_b32 v46, a36
.LBB12_341:                             ;   Parent Loop BB12_79 Depth=1
                                        ; =>  This Inner Loop Header: Depth=2
	s_waitcnt vmcnt(0)
	v_lshl_add_u64 v[18:19], v[16:17], 0, v[12:13]
	global_load_dwordx4 v[2:5], v[18:19], off nt
	global_load_dwordx4 v[14:17], v[18:19], off offset:1024 nt
	global_load_dwordx4 v[22:25], v[18:19], off offset:2048 nt
	;; [unrolled: 1-line block ×3, first 2 shown]
	v_add_co_u32_e32 v18, vcc, 0x1000, v18
	v_sub_u32_e32 v1, v1, v34
	s_nop 0
	v_addc_co_u32_e32 v19, vcc, 0, v19, vcc
	global_load_dwordx4 v[48:51], v[18:19], off nt
	global_load_dwordx4 v[52:55], v[18:19], off offset:1024 nt
	global_load_dwordx4 v[42:45], v[18:19], off offset:2048 nt
	;; [unrolled: 1-line block ×3, first 2 shown]
	s_nop 0
	scratch_load_dwordx2 v[18:19], off, s33 offset:136 ; 8-byte Folded Reload
	v_cmp_gt_i32_e64 s[30:31], 1, v1
	v_lshl_add_u64 v[12:13], v[12:13], 0, v[46:47]
	s_or_b64 s[36:37], s[30:31], s[36:37]
	s_waitcnt vmcnt(0)
	v_lshl_add_u64 v[18:19], v[18:19], 0, v[10:11]
	global_store_dwordx4 v[18:19], v[2:5], off nt
	global_store_dwordx4 v[18:19], v[14:17], off offset:1024 nt
	scratch_load_dwordx2 v[16:17], off, s33 offset:136 ; 8-byte Folded Reload
	v_lshl_add_u64 v[10:11], v[10:11], 0, v[46:47]
	v_add_co_u32_e32 v38, vcc, 0x1000, v18
	s_nop 1
	v_addc_co_u32_e32 v39, vcc, 0, v19, vcc
	global_store_dwordx4 v[18:19], v[22:25], off offset:2048 nt
	global_store_dwordx4 v[18:19], v[26:29], off offset:3072 nt
	global_store_dwordx4 v[38:39], v[48:51], off nt
	global_store_dwordx4 v[38:39], v[52:55], off offset:1024 nt
	global_store_dwordx4 v[38:39], v[42:45], off offset:2048 nt
	;; [unrolled: 1-line block ×3, first 2 shown]
	s_andn2_b64 exec, exec, s[36:37]
	s_cbranch_execnz .LBB12_341
; %bb.342:                              ;   in Loop: Header=BB12_79 Depth=1
	s_or_b64 exec, exec, s[36:37]
	v_accvgpr_read_b32 v53, a5
	v_accvgpr_read_b32 v55, a15
	;; [unrolled: 1-line block ×18, first 2 shown]
	v_mov_b32_e32 v39, 1
	v_accvgpr_read_b32 v26, a22
	v_accvgpr_read_b32 v28, a24
	;; [unrolled: 1-line block ×8, first 2 shown]
.LBB12_343:                             ;   in Loop: Header=BB12_79 Depth=1
	s_or_b64 exec, exec, s[34:35]
	v_lshlrev_b32_e32 v0, 13, v0
	v_cmp_ne_u32_e32 vcc, v30, v0
	s_mov_b64 s[36:37], 0
	v_mov_b32_e32 v22, 0
                                        ; implicit-def: $vgpr48
                                        ; implicit-def: $vgpr18
                                        ; implicit-def: $vgpr2
	s_and_saveexec_b64 s[34:35], vcc
	s_cbranch_execz .LBB12_351
; %bb.344:                              ;   in Loop: Header=BB12_79 Depth=1
	v_lshlrev_b32_e32 v1, 6, v1
	v_accvgpr_read_b32 v2, a38
	v_sub_u32_e32 v1, v2, v1
	v_sub_u32_e32 v3, v30, v0
	v_ashrrev_i32_e32 v2, 31, v1
	v_lshrrev_b32_e32 v2, 26, v2
	v_ashrrev_i32_e32 v5, 31, v3
	v_add_u32_e32 v2, v1, v2
	v_lshrrev_b32_e32 v5, 22, v5
	v_ashrrev_i32_e32 v4, 6, v2
	v_and_b32_e32 v2, 0xffffffc0, v2
	v_add_u32_e32 v5, v3, v5
	v_sub_u32_e32 v1, v1, v2
	v_and_b32_e32 v14, 0xfffffc00, v5
	v_lshlrev_b32_e32 v2, 4, v1
	s_waitcnt vmcnt(0)
	v_sub_u32_e32 v16, v3, v14
	v_lshl_add_u32 v12, v4, 10, v2
	v_ashrrev_i32_e32 v10, 10, v5
	v_cmp_lt_i32_e32 vcc, 15, v16
	v_sub_u32_e32 v2, v3, v12
	s_nop 0
	v_addc_co_u32_e64 v3, s[30:31], 0, v10, vcc
	v_sub_u32_e32 v15, v3, v4
	v_cmp_lt_i32_e64 s[30:31], 15, v2
	s_and_saveexec_b64 s[36:37], s[30:31]
	s_cbranch_execz .LBB12_348
; %bb.345:                              ;   in Loop: Header=BB12_79 Depth=1
	s_trap 2
	ds_read_b64 v[10:11], v0
	v_add_u32_e32 v12, v12, v0
	v_ashrrev_i32_e32 v13, 31, v12
	s_mov_b64 s[64:65], 0
.LBB12_346:                             ;   Parent Loop BB12_79 Depth=1
                                        ; =>  This Inner Loop Header: Depth=2
	s_waitcnt lgkmcnt(0)
	v_lshl_add_u64 v[4:5], v[10:11], 0, v[12:13]
	global_load_dwordx4 v[22:25], v[4:5], off nt
	v_sub_u32_e32 v2, v2, v28
	v_cmp_gt_i32_e64 s[30:31], 16, v2
	v_sub_u32_e32 v15, v15, v34
	v_lshl_add_u64 v[12:13], v[12:13], 0, v[46:47]
	s_or_b64 s[64:65], s[30:31], s[64:65]
	s_waitcnt vmcnt(0)
	global_store_dwordx4 v[4:5], v[22:25], off nt
	s_andn2_b64 exec, exec, s[64:65]
	s_cbranch_execnz .LBB12_346
; %bb.347:                              ;   in Loop: Header=BB12_79 Depth=1
	s_or_b64 exec, exec, s[64:65]
	v_accvgpr_read_b32 v24, a26
	v_accvgpr_read_b32 v25, a27
.LBB12_348:                             ;   in Loop: Header=BB12_79 Depth=1
	s_or_b64 exec, exec, s[36:37]
	v_and_b32_e32 v10, 15, v30
	v_cndmask_b32_e32 v48, v16, v10, vcc
	s_mov_b64 s[36:37], 0
	v_mov_b32_e32 v22, 0
	v_cmp_ne_u32_e64 s[30:31], 0, v48
                                        ; implicit-def: $vgpr18
                                        ; implicit-def: $vgpr2
	s_mov_b64 s[64:65], exec
	v_accvgpr_read_b32 v4, a32
	s_and_b64 s[30:31], s[64:65], s[30:31]
	v_accvgpr_read_b32 v5, a33
	s_mov_b64 exec, s[30:31]
	s_cbranch_execz .LBB12_350
; %bb.349:                              ;   in Loop: Header=BB12_79 Depth=1
	v_sub_u32_e32 v2, v16, v10
	v_cndmask_b32_e32 v2, 0, v2, vcc
	v_cmp_lt_i32_e32 vcc, 0, v15
	v_add3_u32 v22, v14, v0, v2
	s_mov_b64 s[36:37], exec
	v_cndmask_b32_e32 v0, 0, v34, vcc
	v_sub_u32_e32 v0, v0, v15
	v_lshl_add_u32 v18, v0, 6, v1
	v_ashrrev_i32_e32 v0, 31, v18
	v_lshrrev_b32_e32 v0, 26, v0
	v_add_u32_e32 v0, v18, v0
	v_ashrrev_i32_e32 v2, 6, v0
.LBB12_350:                             ;   in Loop: Header=BB12_79 Depth=1
	s_or_b64 exec, exec, s[64:65]
	scratch_load_dwordx2 v[16:17], off, s33 offset:136 ; 8-byte Folded Reload
	v_accvgpr_read_b32 v14, a30
	s_and_b64 s[36:37], s[36:37], exec
	v_accvgpr_read_b32 v15, a31
.LBB12_351:                             ;   in Loop: Header=BB12_79 Depth=1
	s_or_b64 exec, exec, s[34:35]
.LBB12_352:                             ;   in Loop: Header=BB12_79 Depth=1
	s_and_saveexec_b64 s[30:31], s[36:37]
	s_cbranch_execz .LBB12_361
; %bb.353:                              ;   in Loop: Header=BB12_79 Depth=1
	v_ashrrev_i32_e32 v0, 31, v48
	v_lshrrev_b32_e32 v0, 21, v0
	v_add_u32_e32 v0, v48, v0
	v_ashrrev_i32_e32 v1, 11, v0
	v_sub_u32_e32 v0, v1, v2
	v_cmp_lt_i32_e32 vcc, 0, v0
	s_and_saveexec_b64 s[34:35], vcc
	s_cbranch_execz .LBB12_357
; %bb.354:                              ;   in Loop: Header=BB12_79 Depth=1
	v_ashrrev_i32_e32 v3, 31, v18
	s_trap 2
	ds_read_b64 v[10:11], v0
	v_lshrrev_b32_e32 v3, 26, v3
	v_add_u32_e32 v3, v18, v3
	v_and_b32_e32 v3, 0xffffffc0, v3
	v_sub_u32_e32 v3, v18, v3
	v_lshlrev_b32_e32 v2, 11, v2
	v_accvgpr_write_b32 a18, v58
	v_add3_u32 v12, v22, v3, v2
	v_accvgpr_write_b32 a39, v30
	v_accvgpr_write_b32 a13, v57
	;; [unrolled: 1-line block ×3, first 2 shown]
	v_ashrrev_i32_e32 v13, 31, v12
	s_mov_b64 s[36:37], 0
	s_waitcnt vmcnt(0) lgkmcnt(0)
	v_mov_b64_e32 v[16:17], v[10:11]
.LBB12_355:                             ;   Parent Loop BB12_79 Depth=1
                                        ; =>  This Inner Loop Header: Depth=2
	v_lshl_add_u64 v[2:3], v[12:13], 0, v[16:17]
	flat_load_ubyte v4, v[2:3] nt
	flat_load_ubyte v5, v[2:3] offset:64 nt
	flat_load_ubyte v14, v[2:3] offset:128 nt
	;; [unrolled: 1-line block ×30, first 2 shown]
	s_nop 0
	flat_load_ubyte v2, v[2:3] offset:1984 nt
	v_sub_u32_e32 v0, v0, v34
	v_cmp_gt_i32_e32 vcc, 1, v0
	v_lshl_add_u64 v[50:51], v[12:13], 0, v[10:11]
	v_lshl_add_u64 v[16:17], v[16:17], 0, v[40:41]
	;; [unrolled: 1-line block ×3, first 2 shown]
	s_or_b64 s[36:37], vcc, s[36:37]
	s_waitcnt vmcnt(0) lgkmcnt(0)
	flat_store_byte v[50:51], v4 nt
	flat_store_byte v[50:51], v5 offset:64 nt
	flat_store_byte v[50:51], v14 offset:128 nt
	;; [unrolled: 1-line block ×31, first 2 shown]
	s_andn2_b64 exec, exec, s[36:37]
	s_cbranch_execnz .LBB12_355
; %bb.356:                              ;   in Loop: Header=BB12_79 Depth=1
	s_or_b64 exec, exec, s[36:37]
	scratch_load_dwordx2 v[16:17], off, s33 offset:136 ; 8-byte Folded Reload
	v_accvgpr_mov_b32 a45, a3
	v_accvgpr_read_b32 v53, a5
	v_accvgpr_read_b32 v55, a15
	;; [unrolled: 1-line block ×10, first 2 shown]
	v_accvgpr_mov_b32 a44, a2
	v_accvgpr_read_b32 v52, a4
	v_accvgpr_read_b32 v44, a6
	;; [unrolled: 1-line block ×8, first 2 shown]
	v_mov_b32_e32 v39, 1
	v_accvgpr_read_b32 v26, a22
	v_accvgpr_read_b32 v28, a24
	;; [unrolled: 1-line block ×9, first 2 shown]
.LBB12_357:                             ;   in Loop: Header=BB12_79 Depth=1
	s_or_b64 exec, exec, s[34:35]
	v_lshlrev_b32_e32 v1, 11, v1
	v_cmp_ne_u32_e32 vcc, v48, v1
	s_and_b64 exec, exec, vcc
	s_cbranch_execz .LBB12_361
; %bb.358:                              ;   in Loop: Header=BB12_79 Depth=1
	v_ashrrev_i32_e32 v2, 31, v18
	v_lshrrev_b32_e32 v2, 26, v2
	v_add_u32_e32 v2, v18, v2
	v_and_b32_e32 v2, 0xffffffc0, v2
	v_sub_u32_e32 v2, v18, v2
	v_lshlrev_b32_e32 v0, 6, v0
	v_sub_u32_e32 v0, v2, v0
	v_add_u32_e32 v1, v1, v0
	v_sub_u32_e32 v0, v48, v1
	v_cmp_lt_i32_e32 vcc, 0, v0
	s_and_b64 exec, exec, vcc
	s_cbranch_execz .LBB12_361
; %bb.359:                              ;   in Loop: Header=BB12_79 Depth=1
	s_trap 2
	ds_read_b64 v[10:11], v0
	v_add_u32_e32 v12, v1, v22
	v_ashrrev_i32_e32 v13, 31, v12
	s_mov_b64 s[34:35], 0
.LBB12_360:                             ;   Parent Loop BB12_79 Depth=1
                                        ; =>  This Inner Loop Header: Depth=2
	s_waitcnt lgkmcnt(0)
	v_lshl_add_u64 v[2:3], v[10:11], 0, v[12:13]
	flat_load_ubyte v1, v[2:3] nt
	v_sub_u32_e32 v0, v0, v45
	v_cmp_gt_i32_e32 vcc, 1, v0
	v_lshl_add_u64 v[12:13], v[12:13], 0, v[50:51]
	s_or_b64 s[34:35], vcc, s[34:35]
	s_waitcnt vmcnt(0) lgkmcnt(0)
	flat_store_byte v[2:3], v1 nt
	s_andn2_b64 exec, exec, s[34:35]
	s_cbranch_execnz .LBB12_360
.LBB12_361:                             ;   in Loop: Header=BB12_79 Depth=1
	s_or_b64 exec, exec, s[30:31]
.LBB12_362:                             ;   in Loop: Header=BB12_79 Depth=1
	v_cmp_lt_i32_e64 s[30:31], 0, v30
	s_and_saveexec_b64 s[34:35], s[10:11]
	s_cbranch_execz .LBB12_328
.LBB12_363:                             ;   in Loop: Header=BB12_79 Depth=1
	s_and_saveexec_b64 vcc, s[46:47]
	s_xor_b64 s[36:37], exec, vcc
	s_cbranch_execz .LBB12_397
; %bb.364:                              ;   in Loop: Header=BB12_79 Depth=1
	s_and_saveexec_b64 s[64:65], s[16:17]
	s_cbranch_execz .LBB12_396
; %bb.365:                              ;   in Loop: Header=BB12_79 Depth=1
	s_mov_b64 s[68:69], exec
	v_mbcnt_lo_u32_b32 v0, s68, 0
	v_mbcnt_hi_u32_b32 v0, s69, v0
	v_cmp_eq_u32_e32 vcc, 0, v0
	s_waitcnt lgkmcnt(0)
	s_and_saveexec_b64 s[66:67], vcc
	s_cbranch_execz .LBB12_367
; %bb.366:                              ;   in Loop: Header=BB12_79 Depth=1
	s_bcnt1_i32_b64 vcc_lo, s[68:69]
	v_mov_b32_e32 v56, vcc_lo
	ds_add_u64 v0, v[56:57]
	s_trap 2
.LBB12_367:                             ;   in Loop: Header=BB12_79 Depth=1
	s_or_b64 exec, exec, s[66:67]
	s_trap 2
	ds_read_b64 v[0:1], v0
	v_lshl_add_u64 v[58:59], v[58:59], 0, v[34:35]
	s_waitcnt lgkmcnt(0)
	v_cmp_lt_u64_e32 vcc, v[0:1], v[58:59]
	s_and_saveexec_b64 s[66:67], vcc
	s_cbranch_execz .LBB12_395
; %bb.368:                              ;   in Loop: Header=BB12_79 Depth=1
	s_mov_b32 s78, 0
	s_mov_b64 s[68:69], 0
                                        ; implicit-def: $sgpr70_sgpr71
                                        ; implicit-def: $sgpr72_sgpr73
	s_branch .LBB12_370
.LBB12_369:                             ;   in Loop: Header=BB12_370 Depth=2
	s_or_b64 exec, exec, s[76:77]
	s_and_b64 vcc, exec, vcc
	s_or_b64 s[68:69], vcc, s[68:69]
	s_andn2_b64 vcc, s[70:71], exec
	s_and_b64 s[70:71], s[72:73], exec
	s_or_b64 s[70:71], vcc, s[70:71]
	s_andn2_b64 exec, exec, s[68:69]
	s_cbranch_execz .LBB12_393
.LBB12_370:                             ;   Parent Loop BB12_79 Depth=1
                                        ; =>  This Inner Loop Header: Depth=2
	s_add_i32 s78, s78, 1
	s_cmpk_lg_i32 s78, 0x2710
	s_cselect_b64 s[74:75], -1, 0
	s_and_b64 vcc, exec, s[74:75]
                                        ; implicit-def: $sgpr76_sgpr77
	s_cbranch_vccnz .LBB12_372
; %bb.371:                              ;   in Loop: Header=BB12_370 Depth=2
	s_trap 2
	ds_read_b64 v[0:1], v0
	s_andn2_b64 s[74:75], s[74:75], exec
	s_mov_b32 s78, 0
	s_mov_b64 s[76:77], -1
	s_waitcnt vmcnt(0) lgkmcnt(0)
	flat_load_dword v0, v[0:1] sc0 sc1
	s_waitcnt vmcnt(0) lgkmcnt(0)
	buffer_inv sc0 sc1
	v_cmp_eq_u32_e32 vcc, 0, v0
	s_and_b64 vcc, vcc, exec
	s_or_b64 s[74:75], s[74:75], vcc
.LBB12_372:                             ;   in Loop: Header=BB12_370 Depth=2
	s_andn2_b64 s[72:73], s[72:73], exec
	s_and_b64 s[76:77], s[76:77], exec
	s_mov_b64 vcc, -1
	s_or_b64 s[72:73], s[72:73], s[76:77]
	s_and_saveexec_b64 s[76:77], s[74:75]
	s_cbranch_execz .LBB12_369
; %bb.373:                              ;   in Loop: Header=BB12_370 Depth=2
	s_sleep 1
	s_trap 2
	ds_read_b64 v[0:1], v0
	s_andn2_b64 s[72:73], s[72:73], exec
	s_waitcnt lgkmcnt(0)
	v_cmp_ge_u64_e32 vcc, v[0:1], v[58:59]
	s_orn2_b64 vcc, vcc, exec
	s_branch .LBB12_369
.LBB12_374:                             ;   in Loop: Header=BB12_79 Depth=1
	s_or_b64 exec, exec, s[66:67]
	s_and_saveexec_b64 vcc, s[68:69]
	s_xor_b64 vcc, exec, vcc
	s_cbranch_execz .LBB12_376
; %bb.375:                              ;   in Loop: Header=BB12_79 Depth=1
	ds_write_b32 v0, v39
	s_trap 2
.LBB12_376:                             ;   in Loop: Header=BB12_79 Depth=1
	s_or_b64 exec, exec, s[64:65]
	;;#ASMSTART
	s_wakeup
	;;#ASMEND
.LBB12_377:                             ;   in Loop: Header=BB12_79 Depth=1
	s_or_b64 exec, exec, s[62:63]
.LBB12_378:                             ;   in Loop: Header=BB12_79 Depth=1
	s_andn2_saveexec_b64 vcc, s[36:37]
	s_cbranch_execz .LBB12_380
; %bb.379:                              ;   in Loop: Header=BB12_79 Depth=1
	s_waitcnt lgkmcnt(0)
	s_barrier
.LBB12_380:                             ;   in Loop: Header=BB12_79 Depth=1
	s_or_b64 exec, exec, vcc
	s_or_b64 exec, exec, s[34:35]
                                        ; implicit-def: $vgpr0
	s_and_saveexec_b64 vcc, s[24:25]
	s_xor_b64 s[34:35], exec, vcc
	s_cbranch_execnz .LBB12_242
.LBB12_381:                             ;   in Loop: Header=BB12_79 Depth=1
	s_andn2_saveexec_b64 s[30:31], s[34:35]
	s_cbranch_execz .LBB12_419
.LBB12_382:                             ;   in Loop: Header=BB12_79 Depth=1
	s_and_saveexec_b64 vcc, s[46:47]
	s_xor_b64 s[34:35], exec, vcc
	s_cbranch_execz .LBB12_416
; %bb.383:                              ;   in Loop: Header=BB12_79 Depth=1
	s_and_saveexec_b64 s[36:37], s[16:17]
	s_cbranch_execz .LBB12_415
; %bb.384:                              ;   in Loop: Header=BB12_79 Depth=1
	s_mov_b64 s[64:65], exec
	v_mbcnt_lo_u32_b32 v0, s64, 0
	v_mbcnt_hi_u32_b32 v0, s65, v0
	v_cmp_eq_u32_e32 vcc, 0, v0
	;;#ASMSTART
	s_waitcnt lgkmcnt(0) vmcnt(0)
	;;#ASMEND
	s_and_saveexec_b64 s[62:63], vcc
	s_cbranch_execz .LBB12_386
; %bb.385:                              ;   in Loop: Header=BB12_79 Depth=1
	s_bcnt1_i32_b64 vcc_lo, s[64:65]
	v_mov_b32_e32 v56, vcc_lo
	ds_add_u64 v0, v[56:57]
	s_trap 2
.LBB12_386:                             ;   in Loop: Header=BB12_79 Depth=1
	s_or_b64 exec, exec, s[62:63]
	s_trap 2
	ds_read_b64 v[0:1], v0
	v_lshl_add_u64 v[58:59], v[58:59], 0, v[34:35]
	s_waitcnt lgkmcnt(0)
	v_cmp_lt_u64_e32 vcc, v[0:1], v[58:59]
	s_and_saveexec_b64 s[62:63], vcc
	s_cbranch_execz .LBB12_414
; %bb.387:                              ;   in Loop: Header=BB12_79 Depth=1
	s_mov_b32 s74, 0
	s_mov_b64 s[64:65], 0
                                        ; implicit-def: $sgpr66_sgpr67
                                        ; implicit-def: $sgpr68_sgpr69
	s_branch .LBB12_389
.LBB12_388:                             ;   in Loop: Header=BB12_389 Depth=2
	s_or_b64 exec, exec, s[72:73]
	s_and_b64 vcc, exec, vcc
	s_or_b64 s[64:65], vcc, s[64:65]
	s_andn2_b64 vcc, s[66:67], exec
	s_and_b64 s[66:67], s[68:69], exec
	s_or_b64 s[66:67], vcc, s[66:67]
	s_andn2_b64 exec, exec, s[64:65]
	s_cbranch_execz .LBB12_412
.LBB12_389:                             ;   Parent Loop BB12_79 Depth=1
                                        ; =>  This Inner Loop Header: Depth=2
	s_add_i32 s74, s74, 1
	s_cmpk_lg_i32 s74, 0x2710
	s_cselect_b64 s[70:71], -1, 0
	s_and_b64 vcc, exec, s[70:71]
                                        ; implicit-def: $sgpr72_sgpr73
	s_cbranch_vccnz .LBB12_391
; %bb.390:                              ;   in Loop: Header=BB12_389 Depth=2
	s_trap 2
	ds_read_b64 v[0:1], v0
	s_andn2_b64 s[70:71], s[70:71], exec
	s_mov_b32 s74, 0
	s_mov_b64 s[72:73], -1
	s_waitcnt vmcnt(0) lgkmcnt(0)
	flat_load_dword v0, v[0:1] sc0 sc1
	s_waitcnt vmcnt(0) lgkmcnt(0)
	buffer_inv sc0 sc1
	v_cmp_eq_u32_e32 vcc, 0, v0
	s_and_b64 vcc, vcc, exec
	s_or_b64 s[70:71], s[70:71], vcc
.LBB12_391:                             ;   in Loop: Header=BB12_389 Depth=2
	s_andn2_b64 s[68:69], s[68:69], exec
	s_and_b64 s[72:73], s[72:73], exec
	s_mov_b64 vcc, -1
	s_or_b64 s[68:69], s[68:69], s[72:73]
	s_and_saveexec_b64 s[72:73], s[70:71]
	s_cbranch_execz .LBB12_388
; %bb.392:                              ;   in Loop: Header=BB12_389 Depth=2
	s_sleep 1
	s_trap 2
	ds_read_b64 v[0:1], v0
	s_andn2_b64 s[68:69], s[68:69], exec
	s_waitcnt lgkmcnt(0)
	v_cmp_ge_u64_e32 vcc, v[0:1], v[58:59]
	s_orn2_b64 vcc, vcc, exec
	s_branch .LBB12_388
.LBB12_393:                             ;   in Loop: Header=BB12_79 Depth=1
	s_or_b64 exec, exec, s[68:69]
	s_and_saveexec_b64 vcc, s[70:71]
	s_xor_b64 vcc, exec, vcc
	s_cbranch_execz .LBB12_395
; %bb.394:                              ;   in Loop: Header=BB12_79 Depth=1
	ds_write_b32 v0, v39
	s_trap 2
.LBB12_395:                             ;   in Loop: Header=BB12_79 Depth=1
	s_or_b64 exec, exec, s[66:67]
	;;#ASMSTART
	s_wakeup
	;;#ASMEND
.LBB12_396:                             ;   in Loop: Header=BB12_79 Depth=1
	s_or_b64 exec, exec, s[64:65]
.LBB12_397:                             ;   in Loop: Header=BB12_79 Depth=1
	s_andn2_saveexec_b64 vcc, s[36:37]
	s_cbranch_execz .LBB12_399
; %bb.398:                              ;   in Loop: Header=BB12_79 Depth=1
	s_waitcnt lgkmcnt(0)
	s_barrier
.LBB12_399:                             ;   in Loop: Header=BB12_79 Depth=1
	s_or_b64 exec, exec, vcc
	s_or_b64 exec, exec, s[34:35]
                                        ; implicit-def: $vgpr0
	s_and_saveexec_b64 vcc, s[24:25]
	s_xor_b64 s[34:35], exec, vcc
	s_cbranch_execnz .LBB12_329
.LBB12_400:                             ;   in Loop: Header=BB12_79 Depth=1
	s_andn2_saveexec_b64 s[30:31], s[34:35]
	s_cbranch_execz .LBB12_332
.LBB12_401:                             ;   in Loop: Header=BB12_79 Depth=1
	s_and_saveexec_b64 vcc, s[46:47]
	s_xor_b64 s[34:35], exec, vcc
	s_cbranch_execz .LBB12_469
; %bb.402:                              ;   in Loop: Header=BB12_79 Depth=1
	s_and_saveexec_b64 s[36:37], s[16:17]
	s_cbranch_execz .LBB12_468
; %bb.403:                              ;   in Loop: Header=BB12_79 Depth=1
	s_mov_b64 s[66:67], exec
	v_mbcnt_lo_u32_b32 v0, s66, 0
	v_mbcnt_hi_u32_b32 v0, s67, v0
	v_cmp_eq_u32_e32 vcc, 0, v0
	;;#ASMSTART
	s_waitcnt lgkmcnt(0) vmcnt(0)
	;;#ASMEND
	s_and_saveexec_b64 s[64:65], vcc
	s_cbranch_execz .LBB12_405
; %bb.404:                              ;   in Loop: Header=BB12_79 Depth=1
	s_bcnt1_i32_b64 vcc_lo, s[66:67]
	v_mov_b32_e32 v56, vcc_lo
	ds_add_u64 v0, v[56:57]
	s_trap 2
.LBB12_405:                             ;   in Loop: Header=BB12_79 Depth=1
	s_or_b64 exec, exec, s[64:65]
	s_trap 2
	ds_read_b64 v[0:1], v0
	v_lshl_add_u64 v[58:59], v[58:59], 0, v[34:35]
	s_waitcnt lgkmcnt(0)
	v_cmp_lt_u64_e32 vcc, v[0:1], v[58:59]
	s_and_saveexec_b64 s[64:65], vcc
	s_cbranch_execz .LBB12_467
; %bb.406:                              ;   in Loop: Header=BB12_79 Depth=1
	s_mov_b32 s76, 0
	s_mov_b64 s[66:67], 0
                                        ; implicit-def: $sgpr68_sgpr69
                                        ; implicit-def: $sgpr70_sgpr71
	s_branch .LBB12_408
.LBB12_407:                             ;   in Loop: Header=BB12_408 Depth=2
	s_or_b64 exec, exec, s[74:75]
	s_and_b64 vcc, exec, vcc
	s_or_b64 s[66:67], vcc, s[66:67]
	s_andn2_b64 vcc, s[68:69], exec
	s_and_b64 s[68:69], s[70:71], exec
	s_or_b64 s[68:69], vcc, s[68:69]
	s_andn2_b64 exec, exec, s[66:67]
	s_cbranch_execz .LBB12_465
.LBB12_408:                             ;   Parent Loop BB12_79 Depth=1
                                        ; =>  This Inner Loop Header: Depth=2
	s_add_i32 s76, s76, 1
	s_cmpk_lg_i32 s76, 0x2710
	s_cselect_b64 s[72:73], -1, 0
	s_and_b64 vcc, exec, s[72:73]
                                        ; implicit-def: $sgpr74_sgpr75
	s_cbranch_vccnz .LBB12_410
; %bb.409:                              ;   in Loop: Header=BB12_408 Depth=2
	s_trap 2
	ds_read_b64 v[0:1], v0
	s_andn2_b64 s[72:73], s[72:73], exec
	s_mov_b32 s76, 0
	s_mov_b64 s[74:75], -1
	s_waitcnt vmcnt(0) lgkmcnt(0)
	flat_load_dword v0, v[0:1] sc0 sc1
	s_waitcnt vmcnt(0) lgkmcnt(0)
	buffer_inv sc0 sc1
	v_cmp_eq_u32_e32 vcc, 0, v0
	s_and_b64 vcc, vcc, exec
	s_or_b64 s[72:73], s[72:73], vcc
.LBB12_410:                             ;   in Loop: Header=BB12_408 Depth=2
	s_andn2_b64 s[70:71], s[70:71], exec
	s_and_b64 s[74:75], s[74:75], exec
	s_mov_b64 vcc, -1
	s_or_b64 s[70:71], s[70:71], s[74:75]
	s_and_saveexec_b64 s[74:75], s[72:73]
	s_cbranch_execz .LBB12_407
; %bb.411:                              ;   in Loop: Header=BB12_408 Depth=2
	s_sleep 1
	s_trap 2
	ds_read_b64 v[0:1], v0
	s_andn2_b64 s[70:71], s[70:71], exec
	s_waitcnt lgkmcnt(0)
	v_cmp_ge_u64_e32 vcc, v[0:1], v[58:59]
	s_orn2_b64 vcc, vcc, exec
	s_branch .LBB12_407
.LBB12_412:                             ;   in Loop: Header=BB12_79 Depth=1
	s_or_b64 exec, exec, s[64:65]
	s_and_saveexec_b64 vcc, s[66:67]
	s_xor_b64 vcc, exec, vcc
	s_cbranch_execz .LBB12_414
; %bb.413:                              ;   in Loop: Header=BB12_79 Depth=1
	ds_write_b32 v0, v39
	s_trap 2
.LBB12_414:                             ;   in Loop: Header=BB12_79 Depth=1
	s_or_b64 exec, exec, s[62:63]
	;;#ASMSTART
	s_wakeup
	;;#ASMEND
.LBB12_415:                             ;   in Loop: Header=BB12_79 Depth=1
	s_or_b64 exec, exec, s[36:37]
.LBB12_416:                             ;   in Loop: Header=BB12_79 Depth=1
	s_andn2_saveexec_b64 vcc, s[34:35]
	s_cbranch_execz .LBB12_418
; %bb.417:                              ;   in Loop: Header=BB12_79 Depth=1
	;;#ASMSTART
	s_waitcnt lgkmcnt(0) vmcnt(0)
	;;#ASMEND
	s_barrier
.LBB12_418:                             ;   in Loop: Header=BB12_79 Depth=1
	s_or_b64 exec, exec, vcc
	v_and_b32_e32 v0, 16, v62
.LBB12_419:                             ;   in Loop: Header=BB12_79 Depth=1
	s_or_b64 exec, exec, s[30:31]
	v_cmp_ne_u32_e32 vcc, 0, v0
	s_xor_b64 s[30:31], s[12:13], -1
	s_and_b64 s[30:31], vcc, s[30:31]
	s_and_saveexec_b64 vcc, s[30:31]
	s_cbranch_execz .LBB12_421
; %bb.420:                              ;   in Loop: Header=BB12_79 Depth=1
	flat_store_dword v[42:43], v39 sc0 sc1
.LBB12_421:                             ;   in Loop: Header=BB12_79 Depth=1
	s_or_b64 exec, exec, vcc
	v_and_b32_e32 v0, 48, v62
	v_cmp_ne_u32_e32 vcc, 0, v0
	s_and_saveexec_b64 s[30:31], vcc
	s_cbranch_execz .LBB12_423
; %bb.422:                              ;   in Loop: Header=BB12_79 Depth=1
	v_lshl_add_u64 v[8:9], v[8:9], 0, 1
	flat_store_dwordx2 v[20:21], v[8:9] sc0 sc1
.LBB12_423:                             ;   in Loop: Header=BB12_79 Depth=1
	s_or_b64 exec, exec, s[30:31]
	v_mov_b32_e32 v1, v60
.LBB12_424:                             ;   in Loop: Header=BB12_79 Depth=1
	s_or_b64 exec, exec, s[60:61]
	s_mov_b64 vcc, 0
	s_and_saveexec_b64 s[34:35], s[26:27]
	s_cbranch_execz .LBB12_563
; %bb.425:                              ;   in Loop: Header=BB12_79 Depth=1
	v_and_b32_e32 v0, 12, v62
	v_cmp_ne_u32_e32 vcc, 0, v0
	s_mov_b64 s[36:37], -1
	s_and_saveexec_b64 s[30:31], vcc
	s_cbranch_execz .LBB12_437
; %bb.426:                              ;   in Loop: Header=BB12_79 Depth=1
	v_and_b32_e32 v56, 8, v62
	v_lshl_add_u64 v[2:3], v[32:33], 0, v[56:57]
	v_lshl_add_u64 v[10:11], v[8:9], 0, 1
	v_cmp_lt_u64_e32 vcc, v[2:3], v[10:11]
	v_mov_b32_e32 v0, 1
	s_and_saveexec_b64 s[36:37], vcc
	s_cbranch_execz .LBB12_436
; %bb.427:                              ;   in Loop: Header=BB12_79 Depth=1
	s_mov_b64 s[60:61], 0
	v_mov_b32_e32 v0, 0
                                        ; implicit-def: $sgpr62_sgpr63
	s_branch .LBB12_431
.LBB12_428:                             ;   in Loop: Header=BB12_431 Depth=2
	s_or_b64 exec, exec, s[70:71]
	v_mov_b32_e32 v12, 0
	s_orn2_b64 s[68:69], s[68:69], exec
.LBB12_429:                             ;   in Loop: Header=BB12_431 Depth=2
	s_or_b64 exec, exec, s[66:67]
	s_andn2_b64 vcc, s[62:63], exec
	s_and_b64 s[62:63], s[68:69], exec
	s_or_b64 s[62:63], vcc, s[62:63]
	v_mov_b32_e32 v0, v12
.LBB12_430:                             ;   in Loop: Header=BB12_431 Depth=2
	s_or_b64 exec, exec, s[64:65]
	s_waitcnt vmcnt(0) lgkmcnt(0)
	v_lshl_add_u64 v[2:3], v[32:33], 0, v[56:57]
	v_cmp_ge_u64_e32 vcc, v[2:3], v[10:11]
	s_xor_b64 s[64:65], s[62:63], -1
	s_or_b64 vcc, s[64:65], vcc
	s_and_b64 vcc, exec, vcc
	s_or_b64 s[60:61], vcc, s[60:61]
	s_andn2_b64 exec, exec, s[60:61]
	s_cbranch_execz .LBB12_435
.LBB12_431:                             ;   Parent Loop BB12_79 Depth=1
                                        ; =>  This Inner Loop Header: Depth=2
	s_sleep 1
	flat_load_dwordx2 v[32:33], v[20:21] sc0 sc1
	v_and_b32_e32 v2, 64, v62
	v_cmp_eq_u32_e32 vcc, 0, v2
	s_andn2_b64 s[62:63], s[62:63], exec
	s_and_saveexec_b64 s[64:65], vcc
	s_cbranch_execz .LBB12_430
; %bb.432:                              ;   in Loop: Header=BB12_431 Depth=2
	v_add_u32_e32 v12, 1, v0
	v_cmp_lt_i32_e32 vcc, s82, v0
	s_mov_b64 s[68:69], -1
	s_and_saveexec_b64 s[66:67], vcc
	s_cbranch_execz .LBB12_429
; %bb.433:                              ;   in Loop: Header=BB12_431 Depth=2
	s_trap 2
	ds_read_b64 v[2:3], v0
	s_waitcnt vmcnt(0) lgkmcnt(0)
	flat_load_dword v0, v[2:3] sc0 sc1
	s_waitcnt vmcnt(0) lgkmcnt(0)
	buffer_inv sc0 sc1
	v_cmp_ne_u32_e32 vcc, 0, v0
	s_and_saveexec_b64 s[70:71], vcc
	s_cbranch_execz .LBB12_428
; %bb.434:                              ;   in Loop: Header=BB12_431 Depth=2
	v_or_b32_e32 v62, 64, v62
	s_xor_b64 s[68:69], exec, -1
	ds_write_b32 v0, v0
	s_trap 2
	s_branch .LBB12_428
.LBB12_435:                             ;   in Loop: Header=BB12_79 Depth=1
	s_or_b64 exec, exec, s[60:61]
	v_and_b32_e32 v0, 12, v62
.LBB12_436:                             ;   in Loop: Header=BB12_79 Depth=1
	s_or_b64 exec, exec, s[36:37]
	v_cmp_eq_u32_e32 vcc, 0, v0
	s_orn2_b64 s[36:37], vcc, exec
	;;#ASMSTART
	s_wakeup
	;;#ASMEND
.LBB12_437:                             ;   in Loop: Header=BB12_79 Depth=1
	s_or_b64 exec, exec, s[30:31]
	v_sub_u32_e32 v0, v31, v1
	s_xor_b64 vcc, s[36:37], -1
	v_min_i32_e32 v10, v60, v0
	s_and_saveexec_b64 s[36:37], vcc
	s_cbranch_execz .LBB12_453
; %bb.438:                              ;   in Loop: Header=BB12_79 Depth=1
	v_and_b32_e32 v0, 0x108, v62
	v_cmp_ne_u32_e32 vcc, s83, v0
	v_and_b32_e32 v2, 7, v8
	s_and_saveexec_b64 s[30:31], vcc
	s_xor_b64 vcc, exec, s[30:31]
	s_andn2_saveexec_b64 vcc, vcc
	s_cbranch_execz .LBB12_440
; %bb.439:                              ;   in Loop: Header=BB12_79 Depth=1
	v_mad_u64_u32 v[0:1], s[30:31], v2, 24, v[6:7]
	v_ashrrev_i32_e32 v11, 31, v10
	flat_store_dwordx2 v[0:1], v[10:11] offset:8
.LBB12_440:                             ;   in Loop: Header=BB12_79 Depth=1
	s_or_b64 exec, exec, vcc
	v_and_b32_e32 v0, 0x100, v62
	v_cmp_ne_u32_e32 vcc, 0, v0
	s_mov_b64 s[30:31], -1
                                        ; implicit-def: $vgpr12_vgpr13
	s_and_saveexec_b64 s[60:61], vcc
	s_cbranch_execz .LBB12_444
; %bb.441:                              ;   in Loop: Header=BB12_79 Depth=1
	s_waitcnt vmcnt(0)
	v_mad_u64_u32 v[16:17], vcc, v2, 24, v[6:7]
	v_mov_b32_e32 v0, v17
	v_mad_u64_u32 v[0:1], vcc, v57, 24, v[0:1]
	v_mov_b32_e32 v17, v0
	flat_load_dword v0, v[16:17]
                                        ; implicit-def: $vgpr12_vgpr13
	s_waitcnt vmcnt(0) lgkmcnt(0)
	v_cmp_ne_u32_e32 vcc, 1, v0
	v_cmp_eq_u32_e64 s[30:31], 1, v0
	s_and_saveexec_b64 s[62:63], s[30:31]
	s_cbranch_execz .LBB12_443
; %bb.442:                              ;   in Loop: Header=BB12_79 Depth=1
	flat_load_dword v12, v[16:17] offset:4 sc0 sc1
	s_waitcnt vmcnt(0) lgkmcnt(0)
	v_ashrrev_i32_e32 v13, 31, v12
.LBB12_443:                             ;   in Loop: Header=BB12_79 Depth=1
	s_or_b64 exec, exec, s[62:63]
	scratch_load_dwordx2 v[16:17], off, s33 offset:136 ; 8-byte Folded Reload
	s_orn2_b64 s[30:31], vcc, exec
.LBB12_444:                             ;   in Loop: Header=BB12_79 Depth=1
	s_or_b64 exec, exec, s[60:61]
	s_and_saveexec_b64 vcc, s[30:31]
; %bb.445:                              ;   in Loop: Header=BB12_79 Depth=1
	v_accvgpr_read_b32 v1, a21
	v_mul_lo_u32 v0, v57, v38
	v_mul_lo_u32 v1, v2, v1
	v_mad_u64_u32 v[12:13], s[30:31], v2, v38, 0
	v_add3_u32 v13, v13, v1, v0
; %bb.446:                              ;   in Loop: Header=BB12_79 Depth=1
	s_or_b64 exec, exec, vcc
	v_lshl_add_u64 v[0:1], v[54:55], 0, v[12:13]
	s_trap 2
	ds_write_b64 v0, v[0:1]
	v_and_b32_e32 v0, 0x2000, v62
	v_cmp_ne_u32_e32 vcc, 0, v0
	s_and_saveexec_b64 s[30:31], vcc
	s_cbranch_execz .LBB12_448
; %bb.447:                              ;   in Loop: Header=BB12_79 Depth=1
	ds_read_b64 v[0:1], v0 offset:584
	s_waitcnt lgkmcnt(0)
	v_lshl_add_u64 v[0:1], v[0:1], 0, 1
	ds_write_b64 v0, v[0:1] offset:584
.LBB12_448:                             ;   in Loop: Header=BB12_79 Depth=1
	s_or_b64 exec, exec, s[30:31]
	v_lshl_add_u64 v[8:9], v[8:9], 0, 1
	s_or_b64 exec, exec, s[36:37]
	s_and_saveexec_b64 s[30:31], s[10:11]
	s_cbranch_execnz .LBB12_454
.LBB12_449:                             ;   in Loop: Header=BB12_79 Depth=1
	s_or_b64 exec, exec, s[30:31]
                                        ; implicit-def: $vgpr0
	s_and_saveexec_b64 vcc, s[24:25]
	s_xor_b64 s[30:31], exec, vcc
	s_cbranch_execz .LBB12_522
.LBB12_450:                             ;   in Loop: Header=BB12_79 Depth=1
	s_trap 2
	ds_read_b32 v1, v0
	v_cmp_lt_i32_e32 vcc, 0, v10
	v_and_b32_e32 v2, 16, v62
	v_and_b32_e32 v0, 16, v62
	s_waitcnt lgkmcnt(0)
	v_readfirstlane_b32 s36, v1
	s_cmp_eq_u32 s36, 0
	s_cselect_b64 s[36:37], -1, 0
	s_and_b64 s[36:37], vcc, s[36:37]
	v_cmp_ne_u32_e32 vcc, 0, v2
	s_and_b64 s[36:37], vcc, s[36:37]
	s_and_saveexec_b64 vcc, s[36:37]
	s_cbranch_execz .LBB12_452
; %bb.451:                              ;   in Loop: Header=BB12_79 Depth=1
	v_mov_b32_e32 v0, 1
	buffer_wbl2 sc1
	s_waitcnt vmcnt(0)
	buffer_inv sc1
.LBB12_452:                             ;   in Loop: Header=BB12_79 Depth=1
	s_or_b64 exec, exec, vcc
	s_andn2_saveexec_b64 s[30:31], s[30:31]
	s_cbranch_execz .LBB12_560
	s_branch .LBB12_523
.LBB12_453:                             ;   in Loop: Header=BB12_79 Depth=1
	s_or_b64 exec, exec, s[36:37]
	s_and_saveexec_b64 s[30:31], s[10:11]
	s_cbranch_execz .LBB12_449
.LBB12_454:                             ;   in Loop: Header=BB12_79 Depth=1
	s_and_saveexec_b64 vcc, s[46:47]
	s_xor_b64 s[36:37], exec, vcc
	s_cbranch_execz .LBB12_519
; %bb.455:                              ;   in Loop: Header=BB12_79 Depth=1
	s_and_saveexec_b64 s[60:61], s[16:17]
	s_cbranch_execz .LBB12_518
; %bb.456:                              ;   in Loop: Header=BB12_79 Depth=1
	s_mov_b64 s[64:65], exec
	v_mbcnt_lo_u32_b32 v0, s64, 0
	v_mbcnt_hi_u32_b32 v0, s65, v0
	v_cmp_eq_u32_e32 vcc, 0, v0
	s_waitcnt lgkmcnt(0)
	s_and_saveexec_b64 s[62:63], vcc
	s_cbranch_execz .LBB12_458
; %bb.457:                              ;   in Loop: Header=BB12_79 Depth=1
	s_bcnt1_i32_b64 vcc_lo, s[64:65]
	v_mov_b32_e32 v56, vcc_lo
	ds_add_u64 v0, v[56:57]
	s_trap 2
.LBB12_458:                             ;   in Loop: Header=BB12_79 Depth=1
	s_or_b64 exec, exec, s[62:63]
	s_trap 2
	ds_read_b64 v[0:1], v0
	v_lshl_add_u64 v[58:59], v[58:59], 0, v[34:35]
	s_waitcnt lgkmcnt(0)
	v_cmp_lt_u64_e32 vcc, v[0:1], v[58:59]
	s_and_saveexec_b64 s[62:63], vcc
	s_cbranch_execz .LBB12_517
; %bb.459:                              ;   in Loop: Header=BB12_79 Depth=1
	s_mov_b32 s74, 0
	s_mov_b64 s[64:65], 0
                                        ; implicit-def: $sgpr66_sgpr67
                                        ; implicit-def: $sgpr68_sgpr69
	s_branch .LBB12_461
.LBB12_460:                             ;   in Loop: Header=BB12_461 Depth=2
	s_or_b64 exec, exec, s[72:73]
	s_and_b64 vcc, exec, vcc
	s_or_b64 s[64:65], vcc, s[64:65]
	s_andn2_b64 vcc, s[66:67], exec
	s_and_b64 s[66:67], s[68:69], exec
	s_or_b64 s[66:67], vcc, s[66:67]
	s_andn2_b64 exec, exec, s[64:65]
	s_cbranch_execz .LBB12_515
.LBB12_461:                             ;   Parent Loop BB12_79 Depth=1
                                        ; =>  This Inner Loop Header: Depth=2
	s_add_i32 s74, s74, 1
	s_cmpk_lg_i32 s74, 0x2710
	s_cselect_b64 s[70:71], -1, 0
	s_and_b64 vcc, exec, s[70:71]
                                        ; implicit-def: $sgpr72_sgpr73
	s_cbranch_vccnz .LBB12_463
; %bb.462:                              ;   in Loop: Header=BB12_461 Depth=2
	s_trap 2
	ds_read_b64 v[0:1], v0
	s_andn2_b64 s[70:71], s[70:71], exec
	s_mov_b32 s74, 0
	s_mov_b64 s[72:73], -1
	s_waitcnt vmcnt(0) lgkmcnt(0)
	flat_load_dword v0, v[0:1] sc0 sc1
	s_waitcnt vmcnt(0) lgkmcnt(0)
	buffer_inv sc0 sc1
	v_cmp_eq_u32_e32 vcc, 0, v0
	s_and_b64 vcc, vcc, exec
	s_or_b64 s[70:71], s[70:71], vcc
.LBB12_463:                             ;   in Loop: Header=BB12_461 Depth=2
	s_andn2_b64 s[68:69], s[68:69], exec
	s_and_b64 s[72:73], s[72:73], exec
	s_mov_b64 vcc, -1
	s_or_b64 s[68:69], s[68:69], s[72:73]
	s_and_saveexec_b64 s[72:73], s[70:71]
	s_cbranch_execz .LBB12_460
; %bb.464:                              ;   in Loop: Header=BB12_461 Depth=2
	s_sleep 1
	s_trap 2
	ds_read_b64 v[0:1], v0
	s_andn2_b64 s[68:69], s[68:69], exec
	s_waitcnt lgkmcnt(0)
	v_cmp_ge_u64_e32 vcc, v[0:1], v[58:59]
	s_orn2_b64 vcc, vcc, exec
	s_branch .LBB12_460
.LBB12_465:                             ;   in Loop: Header=BB12_79 Depth=1
	s_or_b64 exec, exec, s[66:67]
	s_and_saveexec_b64 vcc, s[68:69]
	s_xor_b64 vcc, exec, vcc
	s_cbranch_execz .LBB12_467
; %bb.466:                              ;   in Loop: Header=BB12_79 Depth=1
	ds_write_b32 v0, v39
	s_trap 2
.LBB12_467:                             ;   in Loop: Header=BB12_79 Depth=1
	s_or_b64 exec, exec, s[64:65]
	;;#ASMSTART
	s_wakeup
	;;#ASMEND
.LBB12_468:                             ;   in Loop: Header=BB12_79 Depth=1
	s_or_b64 exec, exec, s[36:37]
.LBB12_469:                             ;   in Loop: Header=BB12_79 Depth=1
	s_andn2_saveexec_b64 vcc, s[34:35]
	s_cbranch_execz .LBB12_471
; %bb.470:                              ;   in Loop: Header=BB12_79 Depth=1
	;;#ASMSTART
	s_waitcnt lgkmcnt(0) vmcnt(0)
	;;#ASMEND
	s_barrier
.LBB12_471:                             ;   in Loop: Header=BB12_79 Depth=1
	s_or_b64 exec, exec, vcc
	v_and_b32_e32 v0, 16, v62
	s_or_b64 exec, exec, s[30:31]
	v_cmp_ne_u32_e32 vcc, 0, v0
	s_and_saveexec_b64 s[30:31], vcc
	s_cbranch_execz .LBB12_475
.LBB12_472:                             ;   in Loop: Header=BB12_79 Depth=1
	s_and_saveexec_b64 vcc, s[14:15]
	s_cbranch_execz .LBB12_474
; %bb.473:                              ;   in Loop: Header=BB12_79 Depth=1
	flat_store_dword v[42:43], v39 sc0 sc1
.LBB12_474:                             ;   in Loop: Header=BB12_79 Depth=1
	s_or_b64 exec, exec, vcc
	v_lshl_add_u64 v[8:9], v[8:9], 0, 1
	flat_store_dwordx2 v[20:21], v[8:9] sc0 sc1
.LBB12_475:                             ;   in Loop: Header=BB12_79 Depth=1
	s_or_b64 exec, exec, s[30:31]
	v_mov_b32_e32 v1, v60
.LBB12_476:                             ;   in Loop: Header=BB12_79 Depth=1
	s_or_b64 exec, exec, s[62:63]
	s_mov_b64 vcc, 0
	s_mov_b64 s[36:37], s[56:57]
	s_and_saveexec_b64 s[34:35], s[26:27]
	s_cbranch_execz .LBB12_612
; %bb.477:                              ;   in Loop: Header=BB12_79 Depth=1
	v_and_b32_e32 v0, 8, v62
	v_cmp_ne_u32_e32 vcc, 0, v0
	s_mov_b64 s[36:37], -1
	s_and_saveexec_b64 s[30:31], vcc
	s_cbranch_execz .LBB12_489
; %bb.478:                              ;   in Loop: Header=BB12_79 Depth=1
	v_lshl_add_u64 v[2:3], v[32:33], 0, 8
	v_lshl_add_u64 v[10:11], v[8:9], 0, 1
	v_cmp_lt_u64_e32 vcc, v[2:3], v[10:11]
	v_mov_b32_e32 v0, 1
	s_and_saveexec_b64 s[36:37], vcc
	s_cbranch_execz .LBB12_488
; %bb.479:                              ;   in Loop: Header=BB12_79 Depth=1
	s_mov_b64 s[62:63], 0
	v_mov_b32_e32 v0, 0
                                        ; implicit-def: $sgpr64_sgpr65
	s_branch .LBB12_483
.LBB12_480:                             ;   in Loop: Header=BB12_483 Depth=2
	s_or_b64 exec, exec, s[72:73]
	v_mov_b32_e32 v2, 0
	s_orn2_b64 s[70:71], s[70:71], exec
.LBB12_481:                             ;   in Loop: Header=BB12_483 Depth=2
	s_or_b64 exec, exec, s[68:69]
	s_andn2_b64 vcc, s[64:65], exec
	s_and_b64 s[64:65], s[70:71], exec
	s_or_b64 s[64:65], vcc, s[64:65]
	v_mov_b32_e32 v0, v2
.LBB12_482:                             ;   in Loop: Header=BB12_483 Depth=2
	s_or_b64 exec, exec, s[66:67]
	s_waitcnt vmcnt(0) lgkmcnt(0)
	v_lshl_add_u64 v[2:3], v[32:33], 0, 8
	v_cmp_ge_u64_e32 vcc, v[2:3], v[10:11]
	s_xor_b64 s[66:67], s[64:65], -1
	s_or_b64 vcc, s[66:67], vcc
	s_and_b64 vcc, exec, vcc
	s_or_b64 s[62:63], vcc, s[62:63]
	s_andn2_b64 exec, exec, s[62:63]
	s_cbranch_execz .LBB12_487
.LBB12_483:                             ;   Parent Loop BB12_79 Depth=1
                                        ; =>  This Inner Loop Header: Depth=2
	s_sleep 1
	flat_load_dwordx2 v[32:33], v[20:21] sc0 sc1
	v_and_b32_e32 v2, 64, v62
	v_cmp_eq_u32_e32 vcc, 0, v2
	s_andn2_b64 s[64:65], s[64:65], exec
	s_and_saveexec_b64 s[66:67], vcc
	s_cbranch_execz .LBB12_482
; %bb.484:                              ;   in Loop: Header=BB12_483 Depth=2
	v_add_u32_e32 v2, 1, v0
	v_cmp_lt_i32_e32 vcc, s82, v0
	s_mov_b64 s[70:71], -1
	s_and_saveexec_b64 s[68:69], vcc
	s_cbranch_execz .LBB12_481
; %bb.485:                              ;   in Loop: Header=BB12_483 Depth=2
	s_trap 2
	ds_read_b64 v[2:3], v0
	s_waitcnt vmcnt(0) lgkmcnt(0)
	flat_load_dword v0, v[2:3] sc0 sc1
	s_waitcnt vmcnt(0) lgkmcnt(0)
	buffer_inv sc0 sc1
	v_cmp_ne_u32_e32 vcc, 0, v0
	s_and_saveexec_b64 s[72:73], vcc
	s_cbranch_execz .LBB12_480
; %bb.486:                              ;   in Loop: Header=BB12_483 Depth=2
	v_or_b32_e32 v62, 64, v62
	s_xor_b64 s[70:71], exec, -1
	ds_write_b32 v0, v0
	s_trap 2
	s_branch .LBB12_480
.LBB12_487:                             ;   in Loop: Header=BB12_79 Depth=1
	s_or_b64 exec, exec, s[62:63]
	v_and_b32_e32 v0, 8, v62
.LBB12_488:                             ;   in Loop: Header=BB12_79 Depth=1
	s_or_b64 exec, exec, s[36:37]
	v_cmp_eq_u32_e32 vcc, 0, v0
	s_orn2_b64 s[36:37], vcc, exec
	;;#ASMSTART
	s_wakeup
	;;#ASMEND
.LBB12_489:                             ;   in Loop: Header=BB12_79 Depth=1
	s_or_b64 exec, exec, s[30:31]
	v_sub_u32_e32 v0, v31, v1
	s_xor_b64 vcc, s[36:37], -1
	v_min_i32_e32 v10, v60, v0
	s_and_saveexec_b64 s[36:37], vcc
	s_cbranch_execz .LBB12_503
; %bb.490:                              ;   in Loop: Header=BB12_79 Depth=1
	v_and_b32_e32 v0, 0x100, v62
	v_cmp_ne_u32_e32 vcc, 0, v0
	v_and_b32_e32 v0, 7, v8
	s_mov_b64 s[30:31], -1
                                        ; implicit-def: $vgpr12_vgpr13
	s_and_saveexec_b64 s[62:63], vcc
	s_cbranch_execz .LBB12_494
; %bb.491:                              ;   in Loop: Header=BB12_79 Depth=1
	s_waitcnt vmcnt(0)
	v_mad_u64_u32 v[16:17], vcc, v0, 24, v[6:7]
	flat_load_dword v1, v[16:17]
	v_ashrrev_i32_e32 v11, 31, v10
	flat_store_dwordx2 v[16:17], v[10:11] offset:8
                                        ; implicit-def: $vgpr12_vgpr13
	s_waitcnt vmcnt(0) lgkmcnt(0)
	v_cmp_ne_u32_e32 vcc, 1, v1
	v_cmp_eq_u32_e64 s[30:31], 1, v1
	s_and_saveexec_b64 s[64:65], s[30:31]
	s_cbranch_execz .LBB12_493
; %bb.492:                              ;   in Loop: Header=BB12_79 Depth=1
	flat_load_dword v12, v[16:17] offset:4 sc0 sc1
	s_waitcnt vmcnt(0) lgkmcnt(0)
	v_ashrrev_i32_e32 v13, 31, v12
.LBB12_493:                             ;   in Loop: Header=BB12_79 Depth=1
	s_or_b64 exec, exec, s[64:65]
	scratch_load_dwordx2 v[16:17], off, s33 offset:136 ; 8-byte Folded Reload
	s_orn2_b64 s[30:31], vcc, exec
.LBB12_494:                             ;   in Loop: Header=BB12_79 Depth=1
	s_or_b64 exec, exec, s[62:63]
	s_and_saveexec_b64 vcc, s[30:31]
; %bb.495:                              ;   in Loop: Header=BB12_79 Depth=1
	v_mad_i64_i32 v[12:13], s[30:31], v0, v38, 0
; %bb.496:                              ;   in Loop: Header=BB12_79 Depth=1
	s_or_b64 exec, exec, vcc
	v_lshl_add_u64 v[0:1], v[54:55], 0, v[12:13]
	ds_write_b64 v0, v[0:1] offset:792
	v_and_b32_e32 v0, 0x2000, v62
	v_cmp_ne_u32_e32 vcc, 0, v0
	s_and_saveexec_b64 s[30:31], vcc
	s_cbranch_execz .LBB12_498
; %bb.497:                              ;   in Loop: Header=BB12_79 Depth=1
	ds_read_b64 v[0:1], v0 offset:584
	s_waitcnt lgkmcnt(0)
	v_lshl_add_u64 v[0:1], v[0:1], 0, 1
	ds_write_b64 v0, v[0:1] offset:584
.LBB12_498:                             ;   in Loop: Header=BB12_79 Depth=1
	s_or_b64 exec, exec, s[30:31]
	v_lshl_add_u64 v[8:9], v[8:9], 0, 1
	s_or_b64 exec, exec, s[36:37]
	s_and_saveexec_b64 s[30:31], s[10:11]
	s_cbranch_execnz .LBB12_504
.LBB12_499:                             ;   in Loop: Header=BB12_79 Depth=1
	s_or_b64 exec, exec, s[30:31]
                                        ; implicit-def: $vgpr0
	s_and_saveexec_b64 vcc, s[24:25]
	s_xor_b64 s[30:31], exec, vcc
	s_cbranch_execz .LBB12_541
.LBB12_500:                             ;   in Loop: Header=BB12_79 Depth=1
	s_trap 2
	ds_read_b32 v1, v0
	v_cmp_lt_i32_e32 vcc, 0, v10
	v_and_b32_e32 v2, 16, v62
	v_and_b32_e32 v0, 16, v62
	s_waitcnt lgkmcnt(0)
	v_readfirstlane_b32 s36, v1
	s_cmp_eq_u32 s36, 0
	s_cselect_b64 s[36:37], -1, 0
	s_and_b64 s[36:37], vcc, s[36:37]
	v_cmp_ne_u32_e32 vcc, 0, v2
	s_and_b64 s[36:37], vcc, s[36:37]
	s_and_saveexec_b64 vcc, s[36:37]
	s_cbranch_execz .LBB12_502
; %bb.501:                              ;   in Loop: Header=BB12_79 Depth=1
	v_mov_b32_e32 v0, 1
	buffer_wbl2 sc1
	s_waitcnt vmcnt(0)
	buffer_inv sc1
.LBB12_502:                             ;   in Loop: Header=BB12_79 Depth=1
	s_or_b64 exec, exec, vcc
	s_andn2_saveexec_b64 s[30:31], s[30:31]
	s_cbranch_execz .LBB12_609
	s_branch .LBB12_542
.LBB12_503:                             ;   in Loop: Header=BB12_79 Depth=1
	s_or_b64 exec, exec, s[36:37]
	s_and_saveexec_b64 s[30:31], s[10:11]
	s_cbranch_execz .LBB12_499
.LBB12_504:                             ;   in Loop: Header=BB12_79 Depth=1
	s_and_saveexec_b64 vcc, s[46:47]
	s_xor_b64 s[36:37], exec, vcc
	s_cbranch_execz .LBB12_538
; %bb.505:                              ;   in Loop: Header=BB12_79 Depth=1
	s_and_saveexec_b64 s[62:63], s[16:17]
	s_cbranch_execz .LBB12_537
; %bb.506:                              ;   in Loop: Header=BB12_79 Depth=1
	s_mov_b64 s[66:67], exec
	v_mbcnt_lo_u32_b32 v0, s66, 0
	v_mbcnt_hi_u32_b32 v0, s67, v0
	v_cmp_eq_u32_e32 vcc, 0, v0
	s_waitcnt lgkmcnt(0)
	s_and_saveexec_b64 s[64:65], vcc
	s_cbranch_execz .LBB12_508
; %bb.507:                              ;   in Loop: Header=BB12_79 Depth=1
	s_bcnt1_i32_b64 vcc_lo, s[66:67]
	v_mov_b32_e32 v56, vcc_lo
	ds_add_u64 v0, v[56:57]
	s_trap 2
.LBB12_508:                             ;   in Loop: Header=BB12_79 Depth=1
	s_or_b64 exec, exec, s[64:65]
	s_trap 2
	ds_read_b64 v[0:1], v0
	v_lshl_add_u64 v[58:59], v[58:59], 0, v[34:35]
	s_waitcnt lgkmcnt(0)
	v_cmp_lt_u64_e32 vcc, v[0:1], v[58:59]
	s_and_saveexec_b64 s[64:65], vcc
	s_cbranch_execz .LBB12_536
; %bb.509:                              ;   in Loop: Header=BB12_79 Depth=1
	s_mov_b32 s76, 0
	s_mov_b64 s[66:67], 0
                                        ; implicit-def: $sgpr68_sgpr69
                                        ; implicit-def: $sgpr70_sgpr71
	s_branch .LBB12_511
.LBB12_510:                             ;   in Loop: Header=BB12_511 Depth=2
	s_or_b64 exec, exec, s[74:75]
	s_and_b64 vcc, exec, vcc
	s_or_b64 s[66:67], vcc, s[66:67]
	s_andn2_b64 vcc, s[68:69], exec
	s_and_b64 s[68:69], s[70:71], exec
	s_or_b64 s[68:69], vcc, s[68:69]
	s_andn2_b64 exec, exec, s[66:67]
	s_cbranch_execz .LBB12_534
.LBB12_511:                             ;   Parent Loop BB12_79 Depth=1
                                        ; =>  This Inner Loop Header: Depth=2
	s_add_i32 s76, s76, 1
	s_cmpk_lg_i32 s76, 0x2710
	s_cselect_b64 s[72:73], -1, 0
	s_and_b64 vcc, exec, s[72:73]
                                        ; implicit-def: $sgpr74_sgpr75
	s_cbranch_vccnz .LBB12_513
; %bb.512:                              ;   in Loop: Header=BB12_511 Depth=2
	s_trap 2
	ds_read_b64 v[0:1], v0
	s_andn2_b64 s[72:73], s[72:73], exec
	s_mov_b32 s76, 0
	s_mov_b64 s[74:75], -1
	s_waitcnt vmcnt(0) lgkmcnt(0)
	flat_load_dword v0, v[0:1] sc0 sc1
	s_waitcnt vmcnt(0) lgkmcnt(0)
	buffer_inv sc0 sc1
	v_cmp_eq_u32_e32 vcc, 0, v0
	s_and_b64 vcc, vcc, exec
	s_or_b64 s[72:73], s[72:73], vcc
.LBB12_513:                             ;   in Loop: Header=BB12_511 Depth=2
	s_andn2_b64 s[70:71], s[70:71], exec
	s_and_b64 s[74:75], s[74:75], exec
	s_mov_b64 vcc, -1
	s_or_b64 s[70:71], s[70:71], s[74:75]
	s_and_saveexec_b64 s[74:75], s[72:73]
	s_cbranch_execz .LBB12_510
; %bb.514:                              ;   in Loop: Header=BB12_511 Depth=2
	s_sleep 1
	s_trap 2
	ds_read_b64 v[0:1], v0
	s_andn2_b64 s[70:71], s[70:71], exec
	s_waitcnt lgkmcnt(0)
	v_cmp_ge_u64_e32 vcc, v[0:1], v[58:59]
	s_orn2_b64 vcc, vcc, exec
	s_branch .LBB12_510
.LBB12_515:                             ;   in Loop: Header=BB12_79 Depth=1
	s_or_b64 exec, exec, s[64:65]
	s_and_saveexec_b64 vcc, s[66:67]
	s_xor_b64 vcc, exec, vcc
	s_cbranch_execz .LBB12_517
; %bb.516:                              ;   in Loop: Header=BB12_79 Depth=1
	ds_write_b32 v0, v39
	s_trap 2
.LBB12_517:                             ;   in Loop: Header=BB12_79 Depth=1
	s_or_b64 exec, exec, s[62:63]
	;;#ASMSTART
	s_wakeup
	;;#ASMEND
.LBB12_518:                             ;   in Loop: Header=BB12_79 Depth=1
	s_or_b64 exec, exec, s[60:61]
.LBB12_519:                             ;   in Loop: Header=BB12_79 Depth=1
	s_andn2_saveexec_b64 vcc, s[36:37]
	s_cbranch_execz .LBB12_521
; %bb.520:                              ;   in Loop: Header=BB12_79 Depth=1
	s_waitcnt lgkmcnt(0)
	s_barrier
.LBB12_521:                             ;   in Loop: Header=BB12_79 Depth=1
	s_or_b64 exec, exec, vcc
	s_or_b64 exec, exec, s[30:31]
                                        ; implicit-def: $vgpr0
	s_and_saveexec_b64 vcc, s[24:25]
	s_xor_b64 s[30:31], exec, vcc
	s_cbranch_execnz .LBB12_450
.LBB12_522:                             ;   in Loop: Header=BB12_79 Depth=1
	s_andn2_saveexec_b64 s[30:31], s[30:31]
	s_cbranch_execz .LBB12_560
.LBB12_523:                             ;   in Loop: Header=BB12_79 Depth=1
	s_and_saveexec_b64 vcc, s[46:47]
	s_xor_b64 s[36:37], exec, vcc
	s_cbranch_execz .LBB12_557
; %bb.524:                              ;   in Loop: Header=BB12_79 Depth=1
	s_and_saveexec_b64 s[60:61], s[16:17]
	s_cbranch_execz .LBB12_556
; %bb.525:                              ;   in Loop: Header=BB12_79 Depth=1
	s_mov_b64 s[64:65], exec
	v_mbcnt_lo_u32_b32 v0, s64, 0
	v_mbcnt_hi_u32_b32 v0, s65, v0
	v_cmp_eq_u32_e32 vcc, 0, v0
	;;#ASMSTART
	s_waitcnt lgkmcnt(0) vmcnt(0)
	;;#ASMEND
	s_and_saveexec_b64 s[62:63], vcc
	s_cbranch_execz .LBB12_527
; %bb.526:                              ;   in Loop: Header=BB12_79 Depth=1
	s_bcnt1_i32_b64 vcc_lo, s[64:65]
	v_mov_b32_e32 v56, vcc_lo
	ds_add_u64 v0, v[56:57]
	s_trap 2
.LBB12_527:                             ;   in Loop: Header=BB12_79 Depth=1
	s_or_b64 exec, exec, s[62:63]
	s_trap 2
	ds_read_b64 v[0:1], v0
	v_lshl_add_u64 v[58:59], v[58:59], 0, v[34:35]
	s_waitcnt lgkmcnt(0)
	v_cmp_lt_u64_e32 vcc, v[0:1], v[58:59]
	s_and_saveexec_b64 s[62:63], vcc
	s_cbranch_execz .LBB12_555
; %bb.528:                              ;   in Loop: Header=BB12_79 Depth=1
	s_mov_b32 s74, 0
	s_mov_b64 s[64:65], 0
                                        ; implicit-def: $sgpr66_sgpr67
                                        ; implicit-def: $sgpr68_sgpr69
	s_branch .LBB12_530
.LBB12_529:                             ;   in Loop: Header=BB12_530 Depth=2
	s_or_b64 exec, exec, s[72:73]
	s_and_b64 vcc, exec, vcc
	s_or_b64 s[64:65], vcc, s[64:65]
	s_andn2_b64 vcc, s[66:67], exec
	s_and_b64 s[66:67], s[68:69], exec
	s_or_b64 s[66:67], vcc, s[66:67]
	s_andn2_b64 exec, exec, s[64:65]
	s_cbranch_execz .LBB12_553
.LBB12_530:                             ;   Parent Loop BB12_79 Depth=1
                                        ; =>  This Inner Loop Header: Depth=2
	s_add_i32 s74, s74, 1
	s_cmpk_lg_i32 s74, 0x2710
	s_cselect_b64 s[70:71], -1, 0
	s_and_b64 vcc, exec, s[70:71]
                                        ; implicit-def: $sgpr72_sgpr73
	s_cbranch_vccnz .LBB12_532
; %bb.531:                              ;   in Loop: Header=BB12_530 Depth=2
	s_trap 2
	ds_read_b64 v[0:1], v0
	s_andn2_b64 s[70:71], s[70:71], exec
	s_mov_b32 s74, 0
	s_mov_b64 s[72:73], -1
	s_waitcnt vmcnt(0) lgkmcnt(0)
	flat_load_dword v0, v[0:1] sc0 sc1
	s_waitcnt vmcnt(0) lgkmcnt(0)
	buffer_inv sc0 sc1
	v_cmp_eq_u32_e32 vcc, 0, v0
	s_and_b64 vcc, vcc, exec
	s_or_b64 s[70:71], s[70:71], vcc
.LBB12_532:                             ;   in Loop: Header=BB12_530 Depth=2
	s_andn2_b64 s[68:69], s[68:69], exec
	s_and_b64 s[72:73], s[72:73], exec
	s_mov_b64 vcc, -1
	s_or_b64 s[68:69], s[68:69], s[72:73]
	s_and_saveexec_b64 s[72:73], s[70:71]
	s_cbranch_execz .LBB12_529
; %bb.533:                              ;   in Loop: Header=BB12_530 Depth=2
	s_sleep 1
	s_trap 2
	ds_read_b64 v[0:1], v0
	s_andn2_b64 s[68:69], s[68:69], exec
	s_waitcnt lgkmcnt(0)
	v_cmp_ge_u64_e32 vcc, v[0:1], v[58:59]
	s_orn2_b64 vcc, vcc, exec
	s_branch .LBB12_529
.LBB12_534:                             ;   in Loop: Header=BB12_79 Depth=1
	s_or_b64 exec, exec, s[66:67]
	s_and_saveexec_b64 vcc, s[68:69]
	s_xor_b64 vcc, exec, vcc
	s_cbranch_execz .LBB12_536
; %bb.535:                              ;   in Loop: Header=BB12_79 Depth=1
	ds_write_b32 v0, v39
	s_trap 2
.LBB12_536:                             ;   in Loop: Header=BB12_79 Depth=1
	s_or_b64 exec, exec, s[64:65]
	;;#ASMSTART
	s_wakeup
	;;#ASMEND
.LBB12_537:                             ;   in Loop: Header=BB12_79 Depth=1
	s_or_b64 exec, exec, s[62:63]
.LBB12_538:                             ;   in Loop: Header=BB12_79 Depth=1
	s_andn2_saveexec_b64 vcc, s[36:37]
	s_cbranch_execz .LBB12_540
; %bb.539:                              ;   in Loop: Header=BB12_79 Depth=1
	s_waitcnt lgkmcnt(0)
	s_barrier
.LBB12_540:                             ;   in Loop: Header=BB12_79 Depth=1
	s_or_b64 exec, exec, vcc
	s_or_b64 exec, exec, s[30:31]
                                        ; implicit-def: $vgpr0
	s_and_saveexec_b64 vcc, s[24:25]
	s_xor_b64 s[30:31], exec, vcc
	s_cbranch_execnz .LBB12_500
.LBB12_541:                             ;   in Loop: Header=BB12_79 Depth=1
	s_andn2_saveexec_b64 s[30:31], s[30:31]
	s_cbranch_execz .LBB12_609
.LBB12_542:                             ;   in Loop: Header=BB12_79 Depth=1
	s_and_saveexec_b64 vcc, s[46:47]
	s_xor_b64 s[36:37], exec, vcc
	s_cbranch_execz .LBB12_606
; %bb.543:                              ;   in Loop: Header=BB12_79 Depth=1
	s_and_saveexec_b64 s[62:63], s[16:17]
	s_cbranch_execz .LBB12_605
; %bb.544:                              ;   in Loop: Header=BB12_79 Depth=1
	s_mov_b64 s[66:67], exec
	v_mbcnt_lo_u32_b32 v0, s66, 0
	v_mbcnt_hi_u32_b32 v0, s67, v0
	v_cmp_eq_u32_e32 vcc, 0, v0
	;;#ASMSTART
	s_waitcnt lgkmcnt(0) vmcnt(0)
	;;#ASMEND
	s_and_saveexec_b64 s[64:65], vcc
	s_cbranch_execz .LBB12_546
; %bb.545:                              ;   in Loop: Header=BB12_79 Depth=1
	s_bcnt1_i32_b64 vcc_lo, s[66:67]
	v_mov_b32_e32 v56, vcc_lo
	ds_add_u64 v0, v[56:57]
	s_trap 2
.LBB12_546:                             ;   in Loop: Header=BB12_79 Depth=1
	s_or_b64 exec, exec, s[64:65]
	s_trap 2
	ds_read_b64 v[0:1], v0
	v_lshl_add_u64 v[58:59], v[58:59], 0, v[34:35]
	s_waitcnt lgkmcnt(0)
	v_cmp_lt_u64_e32 vcc, v[0:1], v[58:59]
	s_and_saveexec_b64 s[64:65], vcc
	s_cbranch_execz .LBB12_604
; %bb.547:                              ;   in Loop: Header=BB12_79 Depth=1
	s_mov_b32 s76, 0
	s_mov_b64 s[66:67], 0
                                        ; implicit-def: $sgpr68_sgpr69
                                        ; implicit-def: $sgpr70_sgpr71
	s_branch .LBB12_549
.LBB12_548:                             ;   in Loop: Header=BB12_549 Depth=2
	s_or_b64 exec, exec, s[74:75]
	s_and_b64 vcc, exec, vcc
	s_or_b64 s[66:67], vcc, s[66:67]
	s_andn2_b64 vcc, s[68:69], exec
	s_and_b64 s[68:69], s[70:71], exec
	s_or_b64 s[68:69], vcc, s[68:69]
	s_andn2_b64 exec, exec, s[66:67]
	s_cbranch_execz .LBB12_602
.LBB12_549:                             ;   Parent Loop BB12_79 Depth=1
                                        ; =>  This Inner Loop Header: Depth=2
	s_add_i32 s76, s76, 1
	s_cmpk_lg_i32 s76, 0x2710
	s_cselect_b64 s[72:73], -1, 0
	s_and_b64 vcc, exec, s[72:73]
                                        ; implicit-def: $sgpr74_sgpr75
	s_cbranch_vccnz .LBB12_551
; %bb.550:                              ;   in Loop: Header=BB12_549 Depth=2
	s_trap 2
	ds_read_b64 v[0:1], v0
	s_andn2_b64 s[72:73], s[72:73], exec
	s_mov_b32 s76, 0
	s_mov_b64 s[74:75], -1
	s_waitcnt vmcnt(0) lgkmcnt(0)
	flat_load_dword v0, v[0:1] sc0 sc1
	s_waitcnt vmcnt(0) lgkmcnt(0)
	buffer_inv sc0 sc1
	v_cmp_eq_u32_e32 vcc, 0, v0
	s_and_b64 vcc, vcc, exec
	s_or_b64 s[72:73], s[72:73], vcc
.LBB12_551:                             ;   in Loop: Header=BB12_549 Depth=2
	s_andn2_b64 s[70:71], s[70:71], exec
	s_and_b64 s[74:75], s[74:75], exec
	s_mov_b64 vcc, -1
	s_or_b64 s[70:71], s[70:71], s[74:75]
	s_and_saveexec_b64 s[74:75], s[72:73]
	s_cbranch_execz .LBB12_548
; %bb.552:                              ;   in Loop: Header=BB12_549 Depth=2
	s_sleep 1
	s_trap 2
	ds_read_b64 v[0:1], v0
	s_andn2_b64 s[70:71], s[70:71], exec
	s_waitcnt lgkmcnt(0)
	v_cmp_ge_u64_e32 vcc, v[0:1], v[58:59]
	s_orn2_b64 vcc, vcc, exec
	s_branch .LBB12_548
.LBB12_553:                             ;   in Loop: Header=BB12_79 Depth=1
	s_or_b64 exec, exec, s[64:65]
	s_and_saveexec_b64 vcc, s[66:67]
	s_xor_b64 vcc, exec, vcc
	s_cbranch_execz .LBB12_555
; %bb.554:                              ;   in Loop: Header=BB12_79 Depth=1
	ds_write_b32 v0, v39
	s_trap 2
.LBB12_555:                             ;   in Loop: Header=BB12_79 Depth=1
	s_or_b64 exec, exec, s[62:63]
	;;#ASMSTART
	s_wakeup
	;;#ASMEND
.LBB12_556:                             ;   in Loop: Header=BB12_79 Depth=1
	s_or_b64 exec, exec, s[60:61]
.LBB12_557:                             ;   in Loop: Header=BB12_79 Depth=1
	s_andn2_saveexec_b64 vcc, s[36:37]
	s_cbranch_execz .LBB12_559
; %bb.558:                              ;   in Loop: Header=BB12_79 Depth=1
	;;#ASMSTART
	s_waitcnt lgkmcnt(0) vmcnt(0)
	;;#ASMEND
	s_barrier
.LBB12_559:                             ;   in Loop: Header=BB12_79 Depth=1
	s_or_b64 exec, exec, vcc
	v_and_b32_e32 v0, 16, v62
.LBB12_560:                             ;   in Loop: Header=BB12_79 Depth=1
	s_or_b64 exec, exec, s[30:31]
	v_cmp_ne_u32_e32 vcc, 0, v0
	s_xor_b64 s[30:31], s[12:13], -1
	s_and_b64 s[30:31], vcc, s[30:31]
	s_and_saveexec_b64 vcc, s[30:31]
	s_cbranch_execz .LBB12_562
; %bb.561:                              ;   in Loop: Header=BB12_79 Depth=1
	flat_store_dword v[42:43], v39 sc0 sc1
.LBB12_562:                             ;   in Loop: Header=BB12_79 Depth=1
	s_or_b64 exec, exec, vcc
	v_and_b32_e32 v0, 48, v62
	v_cmp_ne_u32_e32 vcc, 0, v0
	s_and_b64 vcc, vcc, exec
.LBB12_563:                             ;   in Loop: Header=BB12_79 Depth=1
	s_or_b64 exec, exec, s[34:35]
	s_and_b64 s[34:35], vcc, exec
                                        ; implicit-def: $vgpr60
                                        ; implicit-def: $vgpr31
                                        ; implicit-def: $vgpr10_vgpr11
.LBB12_564:                             ;   in Loop: Header=BB12_79 Depth=1
	s_andn2_saveexec_b64 s[36:37], s[56:57]
	s_cbranch_execz .LBB12_992
; %bb.565:                              ;   in Loop: Header=BB12_79 Depth=1
	s_waitcnt vmcnt(0)
	v_mov_b32_e32 v16, 0
	s_and_saveexec_b64 s[56:57], s[28:29]
	s_cbranch_execz .LBB12_842
; %bb.566:                              ;   in Loop: Header=BB12_79 Depth=1
	s_and_saveexec_b64 s[30:31], s[0:1]
	s_cbranch_execz .LBB12_568
; %bb.567:                              ;   in Loop: Header=BB12_79 Depth=1
	s_trap 2
	ds_read_b128 v[0:3], v0
	s_waitcnt lgkmcnt(0)
	v_lshl_add_u64 v[0:1], v[0:1], 0, v[10:11]
	v_lshl_add_u64 v[4:5], v[2:3], 0, v[10:11]
	v_cmp_ne_u64_e32 vcc, 0, v[2:3]
	ds_write_b64 v0, v[0:1]
	s_nop 0
	v_cndmask_b32_e32 v1, 0, v5, vcc
	v_cndmask_b32_e32 v0, 0, v4, vcc
	v_accvgpr_read_b32 v4, a32
	v_accvgpr_read_b32 v5, a33
	ds_write_b64 v0, v[0:1]
.LBB12_568:                             ;   in Loop: Header=BB12_79 Depth=1
	s_or_b64 exec, exec, s[30:31]
	v_and_b32_e32 v0, 4, v62
	v_cmp_ne_u32_e32 vcc, 0, v0
	s_mov_b64 s[60:61], -1
	s_and_saveexec_b64 s[30:31], vcc
	s_cbranch_execz .LBB12_578
; %bb.569:                              ;   in Loop: Header=BB12_79 Depth=1
	v_lshl_add_u64 v[10:11], v[8:9], 0, 1
	v_cmp_lt_u64_e32 vcc, v[32:33], v[10:11]
	v_mov_b32_e32 v0, 1
	s_and_saveexec_b64 s[60:61], vcc
	s_cbranch_execz .LBB12_589
; %bb.570:                              ;   in Loop: Header=BB12_79 Depth=1
	s_mov_b64 s[62:63], 0
	v_mov_b32_e32 v0, 0
                                        ; implicit-def: $sgpr64_sgpr65
	s_branch .LBB12_574
.LBB12_571:                             ;   in Loop: Header=BB12_574 Depth=2
	s_or_b64 exec, exec, s[72:73]
	v_mov_b32_e32 v1, 0
	s_orn2_b64 s[70:71], s[70:71], exec
.LBB12_572:                             ;   in Loop: Header=BB12_574 Depth=2
	s_or_b64 exec, exec, s[68:69]
	s_andn2_b64 vcc, s[64:65], exec
	s_and_b64 s[64:65], s[70:71], exec
	s_or_b64 s[64:65], vcc, s[64:65]
	v_mov_b32_e32 v0, v1
.LBB12_573:                             ;   in Loop: Header=BB12_574 Depth=2
	s_or_b64 exec, exec, s[66:67]
	s_waitcnt vmcnt(0) lgkmcnt(0)
	v_cmp_ge_u64_e32 vcc, v[32:33], v[10:11]
	s_xor_b64 s[66:67], s[64:65], -1
	s_or_b64 vcc, s[66:67], vcc
	s_and_b64 vcc, exec, vcc
	s_or_b64 s[62:63], vcc, s[62:63]
	s_andn2_b64 exec, exec, s[62:63]
	s_cbranch_execz .LBB12_588
.LBB12_574:                             ;   Parent Loop BB12_79 Depth=1
                                        ; =>  This Inner Loop Header: Depth=2
	s_sleep 1
	flat_load_dwordx2 v[32:33], v[20:21] sc0 sc1
	v_and_b32_e32 v1, 64, v62
	v_cmp_eq_u32_e32 vcc, 0, v1
	s_andn2_b64 s[64:65], s[64:65], exec
	s_and_saveexec_b64 s[66:67], vcc
	s_cbranch_execz .LBB12_573
; %bb.575:                              ;   in Loop: Header=BB12_574 Depth=2
	v_add_u32_e32 v1, 1, v0
	v_cmp_lt_i32_e32 vcc, s82, v0
	s_mov_b64 s[70:71], -1
	s_and_saveexec_b64 s[68:69], vcc
	s_cbranch_execz .LBB12_572
; %bb.576:                              ;   in Loop: Header=BB12_574 Depth=2
	s_trap 2
	ds_read_b64 v[0:1], v0
	s_waitcnt vmcnt(0) lgkmcnt(0)
	flat_load_dword v0, v[0:1] sc0 sc1
	s_waitcnt vmcnt(0) lgkmcnt(0)
	buffer_inv sc0 sc1
	v_cmp_ne_u32_e32 vcc, 0, v0
	s_and_saveexec_b64 s[72:73], vcc
	s_cbranch_execz .LBB12_571
; %bb.577:                              ;   in Loop: Header=BB12_574 Depth=2
	v_or_b32_e32 v62, 64, v62
	s_xor_b64 s[70:71], exec, -1
	ds_write_b32 v0, v0
	s_trap 2
	s_branch .LBB12_571
.LBB12_578:                             ;   in Loop: Header=BB12_79 Depth=1
	s_or_b64 exec, exec, s[30:31]
	s_xor_b64 vcc, s[60:61], -1
	s_and_saveexec_b64 s[60:61], vcc
	s_cbranch_execz .LBB12_590
.LBB12_579:                             ;   in Loop: Header=BB12_79 Depth=1
	v_and_b32_e32 v0, 0x100, v62
	v_cmp_ne_u32_e32 vcc, 0, v0
	v_and_b32_e32 v0, 7, v8
	s_mov_b64 s[30:31], -1
                                        ; implicit-def: $vgpr10_vgpr11
	s_and_saveexec_b64 s[62:63], vcc
	s_cbranch_execz .LBB12_583
; %bb.580:                              ;   in Loop: Header=BB12_79 Depth=1
	v_mad_u64_u32 v[12:13], vcc, v0, 24, v[6:7]
	flat_load_dword v1, v[12:13]
                                        ; implicit-def: $vgpr10_vgpr11
	s_waitcnt vmcnt(0) lgkmcnt(0)
	v_cmp_ne_u32_e32 vcc, 1, v1
	v_cmp_eq_u32_e64 s[30:31], 1, v1
	s_and_saveexec_b64 s[64:65], s[30:31]
	s_cbranch_execz .LBB12_582
; %bb.581:                              ;   in Loop: Header=BB12_79 Depth=1
	flat_load_dword v10, v[12:13] offset:4 sc0 sc1
	s_waitcnt vmcnt(0) lgkmcnt(0)
	v_ashrrev_i32_e32 v11, 31, v10
.LBB12_582:                             ;   in Loop: Header=BB12_79 Depth=1
	s_or_b64 exec, exec, s[64:65]
	s_orn2_b64 s[30:31], vcc, exec
.LBB12_583:                             ;   in Loop: Header=BB12_79 Depth=1
	s_or_b64 exec, exec, s[62:63]
	s_and_saveexec_b64 vcc, s[30:31]
; %bb.584:                              ;   in Loop: Header=BB12_79 Depth=1
	v_mad_i64_i32 v[10:11], s[30:31], v0, v38, 0
; %bb.585:                              ;   in Loop: Header=BB12_79 Depth=1
	s_or_b64 exec, exec, vcc
	v_lshl_add_u64 v[0:1], v[54:55], 0, v[10:11]
	ds_write_b64 v0, v[0:1] offset:720
	v_and_b32_e32 v0, 0x2000, v62
	v_cmp_ne_u32_e32 vcc, 0, v0
	s_and_saveexec_b64 s[30:31], vcc
	s_cbranch_execz .LBB12_587
; %bb.586:                              ;   in Loop: Header=BB12_79 Depth=1
	ds_read_b64 v[0:1], v0 offset:584
	s_waitcnt lgkmcnt(0)
	v_lshl_add_u64 v[0:1], v[0:1], 0, 1
	ds_write_b64 v0, v[0:1] offset:584
.LBB12_587:                             ;   in Loop: Header=BB12_79 Depth=1
	s_or_b64 exec, exec, s[30:31]
	v_lshl_add_u64 v[8:9], v[8:9], 0, 1
	s_or_b64 exec, exec, s[60:61]
	s_and_saveexec_b64 s[30:31], s[10:11]
	s_cbranch_execz .LBB12_658
	s_branch .LBB12_591
.LBB12_588:                             ;   in Loop: Header=BB12_79 Depth=1
	s_or_b64 exec, exec, s[62:63]
	v_and_b32_e32 v0, 4, v62
.LBB12_589:                             ;   in Loop: Header=BB12_79 Depth=1
	s_or_b64 exec, exec, s[60:61]
	v_cmp_eq_u32_e32 vcc, 0, v0
	s_orn2_b64 s[60:61], vcc, exec
	;;#ASMSTART
	s_wakeup
	;;#ASMEND
	s_or_b64 exec, exec, s[30:31]
	s_xor_b64 vcc, s[60:61], -1
	s_and_saveexec_b64 s[60:61], vcc
	s_cbranch_execnz .LBB12_579
.LBB12_590:                             ;   in Loop: Header=BB12_79 Depth=1
	s_or_b64 exec, exec, s[60:61]
	s_and_saveexec_b64 s[30:31], s[10:11]
	s_cbranch_execz .LBB12_658
.LBB12_591:                             ;   in Loop: Header=BB12_79 Depth=1
	s_and_saveexec_b64 vcc, s[46:47]
	s_xor_b64 s[60:61], exec, vcc
	s_cbranch_execz .LBB12_655
; %bb.592:                              ;   in Loop: Header=BB12_79 Depth=1
	s_and_saveexec_b64 s[62:63], s[16:17]
	s_cbranch_execz .LBB12_654
; %bb.593:                              ;   in Loop: Header=BB12_79 Depth=1
	s_mov_b64 s[66:67], exec
	v_mbcnt_lo_u32_b32 v0, s66, 0
	v_mbcnt_hi_u32_b32 v0, s67, v0
	v_cmp_eq_u32_e32 vcc, 0, v0
	s_waitcnt lgkmcnt(0)
	s_and_saveexec_b64 s[64:65], vcc
	s_cbranch_execz .LBB12_595
; %bb.594:                              ;   in Loop: Header=BB12_79 Depth=1
	s_bcnt1_i32_b64 vcc_lo, s[66:67]
	v_mov_b32_e32 v56, vcc_lo
	ds_add_u64 v0, v[56:57]
	s_trap 2
.LBB12_595:                             ;   in Loop: Header=BB12_79 Depth=1
	s_or_b64 exec, exec, s[64:65]
	s_trap 2
	ds_read_b64 v[0:1], v0
	v_lshl_add_u64 v[58:59], v[58:59], 0, v[34:35]
	s_waitcnt lgkmcnt(0)
	v_cmp_lt_u64_e32 vcc, v[0:1], v[58:59]
	s_and_saveexec_b64 s[64:65], vcc
	s_cbranch_execz .LBB12_653
; %bb.596:                              ;   in Loop: Header=BB12_79 Depth=1
	s_mov_b32 s76, 0
	s_mov_b64 s[66:67], 0
                                        ; implicit-def: $sgpr68_sgpr69
                                        ; implicit-def: $sgpr70_sgpr71
	s_branch .LBB12_598
.LBB12_597:                             ;   in Loop: Header=BB12_598 Depth=2
	s_or_b64 exec, exec, s[74:75]
	s_and_b64 vcc, exec, vcc
	s_or_b64 s[66:67], vcc, s[66:67]
	s_andn2_b64 vcc, s[68:69], exec
	s_and_b64 s[68:69], s[70:71], exec
	s_or_b64 s[68:69], vcc, s[68:69]
	s_andn2_b64 exec, exec, s[66:67]
	s_cbranch_execz .LBB12_651
.LBB12_598:                             ;   Parent Loop BB12_79 Depth=1
                                        ; =>  This Inner Loop Header: Depth=2
	s_add_i32 s76, s76, 1
	s_cmpk_lg_i32 s76, 0x2710
	s_cselect_b64 s[72:73], -1, 0
	s_and_b64 vcc, exec, s[72:73]
                                        ; implicit-def: $sgpr74_sgpr75
	s_cbranch_vccnz .LBB12_600
; %bb.599:                              ;   in Loop: Header=BB12_598 Depth=2
	s_trap 2
	ds_read_b64 v[0:1], v0
	s_andn2_b64 s[72:73], s[72:73], exec
	s_mov_b32 s76, 0
	s_mov_b64 s[74:75], -1
	s_waitcnt lgkmcnt(0)
	flat_load_dword v0, v[0:1] sc0 sc1
	s_waitcnt vmcnt(0) lgkmcnt(0)
	buffer_inv sc0 sc1
	v_cmp_eq_u32_e32 vcc, 0, v0
	s_and_b64 vcc, vcc, exec
	s_or_b64 s[72:73], s[72:73], vcc
.LBB12_600:                             ;   in Loop: Header=BB12_598 Depth=2
	s_andn2_b64 s[70:71], s[70:71], exec
	s_and_b64 s[74:75], s[74:75], exec
	s_mov_b64 vcc, -1
	s_or_b64 s[70:71], s[70:71], s[74:75]
	s_and_saveexec_b64 s[74:75], s[72:73]
	s_cbranch_execz .LBB12_597
; %bb.601:                              ;   in Loop: Header=BB12_598 Depth=2
	s_sleep 1
	s_trap 2
	ds_read_b64 v[0:1], v0
	s_andn2_b64 s[70:71], s[70:71], exec
	s_waitcnt lgkmcnt(0)
	v_cmp_ge_u64_e32 vcc, v[0:1], v[58:59]
	s_orn2_b64 vcc, vcc, exec
	s_branch .LBB12_597
.LBB12_602:                             ;   in Loop: Header=BB12_79 Depth=1
	s_or_b64 exec, exec, s[66:67]
	s_and_saveexec_b64 vcc, s[68:69]
	s_xor_b64 vcc, exec, vcc
	s_cbranch_execz .LBB12_604
; %bb.603:                              ;   in Loop: Header=BB12_79 Depth=1
	ds_write_b32 v0, v39
	s_trap 2
.LBB12_604:                             ;   in Loop: Header=BB12_79 Depth=1
	s_or_b64 exec, exec, s[64:65]
	;;#ASMSTART
	s_wakeup
	;;#ASMEND
.LBB12_605:                             ;   in Loop: Header=BB12_79 Depth=1
	s_or_b64 exec, exec, s[62:63]
.LBB12_606:                             ;   in Loop: Header=BB12_79 Depth=1
	s_andn2_saveexec_b64 vcc, s[36:37]
	s_cbranch_execz .LBB12_608
; %bb.607:                              ;   in Loop: Header=BB12_79 Depth=1
	;;#ASMSTART
	s_waitcnt lgkmcnt(0) vmcnt(0)
	;;#ASMEND
	s_barrier
.LBB12_608:                             ;   in Loop: Header=BB12_79 Depth=1
	s_or_b64 exec, exec, vcc
	v_and_b32_e32 v0, 16, v62
.LBB12_609:                             ;   in Loop: Header=BB12_79 Depth=1
	s_or_b64 exec, exec, s[30:31]
	v_cmp_ne_u32_e32 vcc, 0, v0
	s_mov_b64 s[30:31], 0
	s_mov_b64 s[36:37], s[56:57]
	s_and_saveexec_b64 s[62:63], vcc
	s_xor_b64 vcc, exec, s[62:63]
; %bb.610:                              ;   in Loop: Header=BB12_79 Depth=1
	s_andn2_b64 s[30:31], s[56:57], exec
	s_and_b64 s[36:37], s[12:13], exec
	s_or_b64 s[36:37], s[30:31], s[36:37]
	s_and_b64 s[30:31], s[14:15], exec
; %bb.611:                              ;   in Loop: Header=BB12_79 Depth=1
	s_or_b64 exec, exec, vcc
	s_andn2_b64 vcc, s[56:57], exec
	s_and_b64 s[36:37], s[36:37], exec
	s_or_b64 s[36:37], vcc, s[36:37]
	s_and_b64 vcc, s[30:31], exec
.LBB12_612:                             ;   in Loop: Header=BB12_79 Depth=1
	s_or_b64 exec, exec, s[34:35]
	s_andn2_b64 s[30:31], s[56:57], exec
	s_and_b64 s[34:35], s[36:37], exec
	s_or_b64 s[30:31], s[30:31], s[34:35]
	s_and_b64 s[34:35], vcc, exec
                                        ; implicit-def: $vgpr60
                                        ; implicit-def: $vgpr31
                                        ; implicit-def: $vgpr10_vgpr11
.LBB12_613:                             ;   in Loop: Header=BB12_79 Depth=1
	s_andn2_saveexec_b64 s[36:37], s[60:61]
	s_cbranch_execz .LBB12_980
; %bb.614:                              ;   in Loop: Header=BB12_79 Depth=1
	v_mov_b32_e32 v1, 0
	s_and_saveexec_b64 s[60:61], s[28:29]
	s_cbranch_execz .LBB12_892
; %bb.615:                              ;   in Loop: Header=BB12_79 Depth=1
	s_and_saveexec_b64 s[28:29], s[0:1]
	s_cbranch_execz .LBB12_617
; %bb.616:                              ;   in Loop: Header=BB12_79 Depth=1
	s_trap 2
	ds_read_b64 v[0:1], v0
	v_mov_b32_e32 v56, v57
	s_waitcnt lgkmcnt(0)
	v_lshl_add_u64 v[0:1], v[0:1], 0, v[10:11]
	ds_write_b64 v0, v[0:1]
	ds_write_b64 v0, v[56:57]
.LBB12_617:                             ;   in Loop: Header=BB12_79 Depth=1
	s_or_b64 exec, exec, s[28:29]
	v_and_b32_e32 v0, 8, v62
	v_cmp_ne_u32_e32 vcc, 0, v0
	s_mov_b64 s[62:63], -1
	s_and_saveexec_b64 s[28:29], vcc
	s_cbranch_execz .LBB12_629
; %bb.618:                              ;   in Loop: Header=BB12_79 Depth=1
	v_lshl_add_u64 v[0:1], v[32:33], 0, 8
	v_lshl_add_u64 v[10:11], v[8:9], 0, 1
	v_cmp_lt_u64_e32 vcc, v[0:1], v[10:11]
	v_mov_b32_e32 v0, 1
	s_and_saveexec_b64 s[62:63], vcc
	s_cbranch_execz .LBB12_628
; %bb.619:                              ;   in Loop: Header=BB12_79 Depth=1
	s_mov_b64 s[64:65], 0
	v_mov_b32_e32 v0, 0
                                        ; implicit-def: $sgpr66_sgpr67
	s_branch .LBB12_623
.LBB12_620:                             ;   in Loop: Header=BB12_623 Depth=2
	s_or_b64 exec, exec, s[74:75]
	v_mov_b32_e32 v1, 0
	s_orn2_b64 s[72:73], s[72:73], exec
.LBB12_621:                             ;   in Loop: Header=BB12_623 Depth=2
	s_or_b64 exec, exec, s[70:71]
	s_andn2_b64 vcc, s[66:67], exec
	s_and_b64 s[66:67], s[72:73], exec
	s_or_b64 s[66:67], vcc, s[66:67]
	v_mov_b32_e32 v0, v1
.LBB12_622:                             ;   in Loop: Header=BB12_623 Depth=2
	s_or_b64 exec, exec, s[68:69]
	s_waitcnt vmcnt(0) lgkmcnt(0)
	v_lshl_add_u64 v[2:3], v[32:33], 0, 8
	v_cmp_ge_u64_e32 vcc, v[2:3], v[10:11]
	s_xor_b64 s[68:69], s[66:67], -1
	s_or_b64 vcc, s[68:69], vcc
	s_and_b64 vcc, exec, vcc
	s_or_b64 s[64:65], vcc, s[64:65]
	s_andn2_b64 exec, exec, s[64:65]
	s_cbranch_execz .LBB12_627
.LBB12_623:                             ;   Parent Loop BB12_79 Depth=1
                                        ; =>  This Inner Loop Header: Depth=2
	s_sleep 1
	flat_load_dwordx2 v[32:33], v[20:21] sc0 sc1
	v_and_b32_e32 v1, 64, v62
	v_cmp_eq_u32_e32 vcc, 0, v1
	s_andn2_b64 s[66:67], s[66:67], exec
	s_and_saveexec_b64 s[68:69], vcc
	s_cbranch_execz .LBB12_622
; %bb.624:                              ;   in Loop: Header=BB12_623 Depth=2
	v_add_u32_e32 v1, 1, v0
	v_cmp_lt_i32_e32 vcc, s82, v0
	s_mov_b64 s[72:73], -1
	s_and_saveexec_b64 s[70:71], vcc
	s_cbranch_execz .LBB12_621
; %bb.625:                              ;   in Loop: Header=BB12_623 Depth=2
	s_trap 2
	ds_read_b64 v[0:1], v0
	s_waitcnt vmcnt(0) lgkmcnt(0)
	flat_load_dword v0, v[0:1] sc0 sc1
	s_waitcnt vmcnt(0) lgkmcnt(0)
	buffer_inv sc0 sc1
	v_cmp_ne_u32_e32 vcc, 0, v0
	s_and_saveexec_b64 s[74:75], vcc
	s_cbranch_execz .LBB12_620
; %bb.626:                              ;   in Loop: Header=BB12_623 Depth=2
	v_or_b32_e32 v62, 64, v62
	s_xor_b64 s[72:73], exec, -1
	ds_write_b32 v0, v0
	s_trap 2
	s_branch .LBB12_620
.LBB12_627:                             ;   in Loop: Header=BB12_79 Depth=1
	s_or_b64 exec, exec, s[64:65]
	v_and_b32_e32 v0, 8, v62
.LBB12_628:                             ;   in Loop: Header=BB12_79 Depth=1
	s_or_b64 exec, exec, s[62:63]
	v_cmp_eq_u32_e32 vcc, 0, v0
	s_orn2_b64 s[62:63], vcc, exec
	;;#ASMSTART
	s_wakeup
	;;#ASMEND
.LBB12_629:                             ;   in Loop: Header=BB12_79 Depth=1
	s_or_b64 exec, exec, s[28:29]
	s_xor_b64 s[28:29], s[62:63], -1
	v_min_i32_e32 v60, v60, v31
	s_and_saveexec_b64 s[62:63], s[28:29]
	s_cbranch_execz .LBB12_639
; %bb.630:                              ;   in Loop: Header=BB12_79 Depth=1
	v_and_b32_e32 v0, 0x100, v62
	v_cmp_ne_u32_e32 vcc, 0, v0
	v_and_b32_e32 v0, 7, v8
	s_mov_b64 s[28:29], -1
                                        ; implicit-def: $vgpr10_vgpr11
	s_and_saveexec_b64 s[64:65], vcc
	s_cbranch_execz .LBB12_634
; %bb.631:                              ;   in Loop: Header=BB12_79 Depth=1
	v_mad_u64_u32 v[12:13], s[28:29], v0, 24, v[6:7]
	flat_load_dword v1, v[12:13]
	v_ashrrev_i32_e32 v61, 31, v60
	flat_store_dwordx2 v[12:13], v[60:61] offset:8
                                        ; implicit-def: $vgpr10_vgpr11
	s_waitcnt vmcnt(0) lgkmcnt(0)
	v_cmp_ne_u32_e32 vcc, 1, v1
	v_cmp_eq_u32_e64 s[28:29], 1, v1
	s_and_saveexec_b64 s[66:67], s[28:29]
	s_cbranch_execz .LBB12_633
; %bb.632:                              ;   in Loop: Header=BB12_79 Depth=1
	flat_load_dword v10, v[12:13] offset:4 sc0 sc1
	s_waitcnt vmcnt(0) lgkmcnt(0)
	v_ashrrev_i32_e32 v11, 31, v10
.LBB12_633:                             ;   in Loop: Header=BB12_79 Depth=1
	s_or_b64 exec, exec, s[66:67]
	s_orn2_b64 s[28:29], vcc, exec
.LBB12_634:                             ;   in Loop: Header=BB12_79 Depth=1
	s_or_b64 exec, exec, s[64:65]
	s_and_saveexec_b64 vcc, s[28:29]
; %bb.635:                              ;   in Loop: Header=BB12_79 Depth=1
	v_mad_i64_i32 v[10:11], s[28:29], v0, v38, 0
; %bb.636:                              ;   in Loop: Header=BB12_79 Depth=1
	s_or_b64 exec, exec, vcc
	v_lshl_add_u64 v[0:1], v[54:55], 0, v[10:11]
	ds_write_b64 v0, v[0:1] offset:784
	v_and_b32_e32 v0, 0x2000, v62
	v_cmp_ne_u32_e32 vcc, 0, v0
	s_and_saveexec_b64 s[28:29], vcc
	s_cbranch_execz .LBB12_638
; %bb.637:                              ;   in Loop: Header=BB12_79 Depth=1
	ds_read_b64 v[0:1], v0 offset:584
	s_waitcnt lgkmcnt(0)
	v_lshl_add_u64 v[0:1], v[0:1], 0, 1
	ds_write_b64 v0, v[0:1] offset:584
.LBB12_638:                             ;   in Loop: Header=BB12_79 Depth=1
	s_or_b64 exec, exec, s[28:29]
	v_lshl_add_u64 v[8:9], v[8:9], 0, 1
.LBB12_639:                             ;   in Loop: Header=BB12_79 Depth=1
	s_or_b64 exec, exec, s[62:63]
	s_and_saveexec_b64 s[28:29], s[10:11]
	s_cbranch_execz .LBB12_677
; %bb.640:                              ;   in Loop: Header=BB12_79 Depth=1
	s_and_saveexec_b64 vcc, s[46:47]
	s_xor_b64 s[62:63], exec, vcc
	s_cbranch_execz .LBB12_674
; %bb.641:                              ;   in Loop: Header=BB12_79 Depth=1
	s_and_saveexec_b64 s[64:65], s[16:17]
	s_cbranch_execz .LBB12_673
; %bb.642:                              ;   in Loop: Header=BB12_79 Depth=1
	s_mov_b64 s[68:69], exec
	v_mbcnt_lo_u32_b32 v0, s68, 0
	v_mbcnt_hi_u32_b32 v0, s69, v0
	v_cmp_eq_u32_e32 vcc, 0, v0
	s_waitcnt lgkmcnt(0)
	s_and_saveexec_b64 s[66:67], vcc
	s_cbranch_execz .LBB12_644
; %bb.643:                              ;   in Loop: Header=BB12_79 Depth=1
	s_bcnt1_i32_b64 vcc_lo, s[68:69]
	v_mov_b32_e32 v56, vcc_lo
	ds_add_u64 v0, v[56:57]
	s_trap 2
.LBB12_644:                             ;   in Loop: Header=BB12_79 Depth=1
	s_or_b64 exec, exec, s[66:67]
	s_trap 2
	ds_read_b64 v[0:1], v0
	v_lshl_add_u64 v[58:59], v[58:59], 0, v[34:35]
	s_waitcnt lgkmcnt(0)
	v_cmp_lt_u64_e32 vcc, v[0:1], v[58:59]
	s_and_saveexec_b64 s[66:67], vcc
	s_cbranch_execz .LBB12_672
; %bb.645:                              ;   in Loop: Header=BB12_79 Depth=1
	s_mov_b32 s78, 0
	s_mov_b64 s[68:69], 0
                                        ; implicit-def: $sgpr70_sgpr71
                                        ; implicit-def: $sgpr72_sgpr73
	s_branch .LBB12_647
.LBB12_646:                             ;   in Loop: Header=BB12_647 Depth=2
	s_or_b64 exec, exec, s[76:77]
	s_and_b64 vcc, exec, vcc
	s_or_b64 s[68:69], vcc, s[68:69]
	s_andn2_b64 vcc, s[70:71], exec
	s_and_b64 s[70:71], s[72:73], exec
	s_or_b64 s[70:71], vcc, s[70:71]
	s_andn2_b64 exec, exec, s[68:69]
	s_cbranch_execz .LBB12_670
.LBB12_647:                             ;   Parent Loop BB12_79 Depth=1
                                        ; =>  This Inner Loop Header: Depth=2
	s_add_i32 s78, s78, 1
	s_cmpk_lg_i32 s78, 0x2710
	s_cselect_b64 s[74:75], -1, 0
	s_and_b64 vcc, exec, s[74:75]
                                        ; implicit-def: $sgpr76_sgpr77
	s_cbranch_vccnz .LBB12_649
; %bb.648:                              ;   in Loop: Header=BB12_647 Depth=2
	s_trap 2
	ds_read_b64 v[0:1], v0
	s_andn2_b64 s[74:75], s[74:75], exec
	s_mov_b32 s78, 0
	s_mov_b64 s[76:77], -1
	s_waitcnt vmcnt(0) lgkmcnt(0)
	flat_load_dword v0, v[0:1] sc0 sc1
	s_waitcnt vmcnt(0) lgkmcnt(0)
	buffer_inv sc0 sc1
	v_cmp_eq_u32_e32 vcc, 0, v0
	s_and_b64 vcc, vcc, exec
	s_or_b64 s[74:75], s[74:75], vcc
.LBB12_649:                             ;   in Loop: Header=BB12_647 Depth=2
	s_andn2_b64 s[72:73], s[72:73], exec
	s_and_b64 s[76:77], s[76:77], exec
	s_mov_b64 vcc, -1
	s_or_b64 s[72:73], s[72:73], s[76:77]
	s_and_saveexec_b64 s[76:77], s[74:75]
	s_cbranch_execz .LBB12_646
; %bb.650:                              ;   in Loop: Header=BB12_647 Depth=2
	s_sleep 1
	s_trap 2
	ds_read_b64 v[0:1], v0
	s_andn2_b64 s[72:73], s[72:73], exec
	s_waitcnt lgkmcnt(0)
	v_cmp_ge_u64_e32 vcc, v[0:1], v[58:59]
	s_orn2_b64 vcc, vcc, exec
	s_branch .LBB12_646
.LBB12_651:                             ;   in Loop: Header=BB12_79 Depth=1
	s_or_b64 exec, exec, s[66:67]
	s_and_saveexec_b64 vcc, s[68:69]
	s_xor_b64 vcc, exec, vcc
	s_cbranch_execz .LBB12_653
; %bb.652:                              ;   in Loop: Header=BB12_79 Depth=1
	ds_write_b32 v0, v39
	s_trap 2
.LBB12_653:                             ;   in Loop: Header=BB12_79 Depth=1
	s_or_b64 exec, exec, s[64:65]
	;;#ASMSTART
	s_wakeup
	;;#ASMEND
.LBB12_654:                             ;   in Loop: Header=BB12_79 Depth=1
	s_or_b64 exec, exec, s[62:63]
.LBB12_655:                             ;   in Loop: Header=BB12_79 Depth=1
	s_andn2_saveexec_b64 vcc, s[60:61]
	s_cbranch_execz .LBB12_657
; %bb.656:                              ;   in Loop: Header=BB12_79 Depth=1
	s_waitcnt lgkmcnt(0)
	s_barrier
.LBB12_657:                             ;   in Loop: Header=BB12_79 Depth=1
	s_or_b64 exec, exec, vcc
.LBB12_658:                             ;   in Loop: Header=BB12_79 Depth=1
	s_or_b64 exec, exec, s[30:31]
	s_trap 2
	ds_read_b32 v10, v0
	v_and_b32_e32 v0, 0x4000, v62
	v_cmp_ne_u32_e32 vcc, 0, v0
	s_xor_b64 s[30:31], s[6:7], -1
	s_and_b64 vcc, s[30:31], vcc
	s_and_saveexec_b64 s[30:31], vcc
	s_cbranch_execz .LBB12_696
; %bb.659:                              ;   in Loop: Header=BB12_79 Depth=1
	s_and_saveexec_b64 vcc, s[46:47]
	s_xor_b64 s[60:61], exec, vcc
	s_cbranch_execz .LBB12_693
; %bb.660:                              ;   in Loop: Header=BB12_79 Depth=1
	s_and_saveexec_b64 s[62:63], s[16:17]
	s_cbranch_execz .LBB12_692
; %bb.661:                              ;   in Loop: Header=BB12_79 Depth=1
	s_mov_b64 s[66:67], exec
	v_mbcnt_lo_u32_b32 v0, s66, 0
	v_mbcnt_hi_u32_b32 v0, s67, v0
	v_cmp_eq_u32_e32 vcc, 0, v0
	s_waitcnt lgkmcnt(0)
	s_and_saveexec_b64 s[64:65], vcc
	s_cbranch_execz .LBB12_663
; %bb.662:                              ;   in Loop: Header=BB12_79 Depth=1
	s_bcnt1_i32_b64 vcc_lo, s[66:67]
	v_mov_b32_e32 v56, vcc_lo
	ds_add_u64 v0, v[56:57]
	s_trap 2
.LBB12_663:                             ;   in Loop: Header=BB12_79 Depth=1
	s_or_b64 exec, exec, s[64:65]
	s_trap 2
	ds_read_b64 v[0:1], v0
	v_lshl_add_u64 v[58:59], v[58:59], 0, v[34:35]
	s_waitcnt lgkmcnt(0)
	v_cmp_lt_u64_e32 vcc, v[0:1], v[58:59]
	s_and_saveexec_b64 s[64:65], vcc
	s_cbranch_execz .LBB12_691
; %bb.664:                              ;   in Loop: Header=BB12_79 Depth=1
	s_mov_b32 s76, 0
	s_mov_b64 s[66:67], 0
                                        ; implicit-def: $sgpr68_sgpr69
                                        ; implicit-def: $sgpr70_sgpr71
	s_branch .LBB12_666
.LBB12_665:                             ;   in Loop: Header=BB12_666 Depth=2
	s_or_b64 exec, exec, s[74:75]
	s_and_b64 vcc, exec, vcc
	s_or_b64 s[66:67], vcc, s[66:67]
	s_andn2_b64 vcc, s[68:69], exec
	s_and_b64 s[68:69], s[70:71], exec
	s_or_b64 s[68:69], vcc, s[68:69]
	s_andn2_b64 exec, exec, s[66:67]
	s_cbranch_execz .LBB12_689
.LBB12_666:                             ;   Parent Loop BB12_79 Depth=1
                                        ; =>  This Inner Loop Header: Depth=2
	s_add_i32 s76, s76, 1
	s_cmpk_lg_i32 s76, 0x2710
	s_cselect_b64 s[72:73], -1, 0
	s_and_b64 vcc, exec, s[72:73]
                                        ; implicit-def: $sgpr74_sgpr75
	s_cbranch_vccnz .LBB12_668
; %bb.667:                              ;   in Loop: Header=BB12_666 Depth=2
	s_trap 2
	ds_read_b64 v[0:1], v0
	s_andn2_b64 s[72:73], s[72:73], exec
	s_mov_b32 s76, 0
	s_mov_b64 s[74:75], -1
	s_waitcnt lgkmcnt(0)
	flat_load_dword v0, v[0:1] sc0 sc1
	s_waitcnt vmcnt(0) lgkmcnt(0)
	buffer_inv sc0 sc1
	v_cmp_eq_u32_e32 vcc, 0, v0
	s_and_b64 vcc, vcc, exec
	s_or_b64 s[72:73], s[72:73], vcc
.LBB12_668:                             ;   in Loop: Header=BB12_666 Depth=2
	s_andn2_b64 s[70:71], s[70:71], exec
	s_and_b64 s[74:75], s[74:75], exec
	s_mov_b64 vcc, -1
	s_or_b64 s[70:71], s[70:71], s[74:75]
	s_and_saveexec_b64 s[74:75], s[72:73]
	s_cbranch_execz .LBB12_665
; %bb.669:                              ;   in Loop: Header=BB12_666 Depth=2
	s_sleep 1
	s_trap 2
	ds_read_b64 v[0:1], v0
	s_andn2_b64 s[70:71], s[70:71], exec
	s_waitcnt lgkmcnt(0)
	v_cmp_ge_u64_e32 vcc, v[0:1], v[58:59]
	s_orn2_b64 vcc, vcc, exec
	s_branch .LBB12_665
.LBB12_670:                             ;   in Loop: Header=BB12_79 Depth=1
	s_or_b64 exec, exec, s[68:69]
	s_and_saveexec_b64 vcc, s[70:71]
	s_xor_b64 vcc, exec, vcc
	s_cbranch_execz .LBB12_672
; %bb.671:                              ;   in Loop: Header=BB12_79 Depth=1
	ds_write_b32 v0, v39
	s_trap 2
.LBB12_672:                             ;   in Loop: Header=BB12_79 Depth=1
	s_or_b64 exec, exec, s[66:67]
	;;#ASMSTART
	s_wakeup
	;;#ASMEND
.LBB12_673:                             ;   in Loop: Header=BB12_79 Depth=1
	s_or_b64 exec, exec, s[64:65]
.LBB12_674:                             ;   in Loop: Header=BB12_79 Depth=1
	s_andn2_saveexec_b64 vcc, s[62:63]
	s_cbranch_execz .LBB12_676
; %bb.675:                              ;   in Loop: Header=BB12_79 Depth=1
	s_waitcnt lgkmcnt(0)
	s_barrier
.LBB12_676:                             ;   in Loop: Header=BB12_79 Depth=1
	s_or_b64 exec, exec, vcc
.LBB12_677:                             ;   in Loop: Header=BB12_79 Depth=1
	s_or_b64 exec, exec, s[28:29]
	s_trap 2
	ds_read_b32 v10, v0
	v_and_b32_e32 v0, 0x4000, v62
	v_cmp_ne_u32_e32 vcc, 0, v0
	s_xor_b64 s[28:29], s[6:7], -1
	s_and_b64 vcc, s[28:29], vcc
	s_and_saveexec_b64 s[28:29], vcc
	s_cbranch_execz .LBB12_748
; %bb.678:                              ;   in Loop: Header=BB12_79 Depth=1
	s_and_saveexec_b64 vcc, s[46:47]
	s_xor_b64 s[62:63], exec, vcc
	s_cbranch_execz .LBB12_745
; %bb.679:                              ;   in Loop: Header=BB12_79 Depth=1
	s_and_saveexec_b64 s[64:65], s[16:17]
	s_cbranch_execz .LBB12_744
; %bb.680:                              ;   in Loop: Header=BB12_79 Depth=1
	s_mov_b64 s[68:69], exec
	v_mbcnt_lo_u32_b32 v0, s68, 0
	v_mbcnt_hi_u32_b32 v0, s69, v0
	v_cmp_eq_u32_e32 vcc, 0, v0
	s_waitcnt lgkmcnt(0)
	s_and_saveexec_b64 s[66:67], vcc
	s_cbranch_execz .LBB12_682
; %bb.681:                              ;   in Loop: Header=BB12_79 Depth=1
	s_bcnt1_i32_b64 vcc_lo, s[68:69]
	v_mov_b32_e32 v56, vcc_lo
	ds_add_u64 v0, v[56:57]
	s_trap 2
.LBB12_682:                             ;   in Loop: Header=BB12_79 Depth=1
	s_or_b64 exec, exec, s[66:67]
	s_trap 2
	ds_read_b64 v[0:1], v0
	v_lshl_add_u64 v[58:59], v[58:59], 0, v[34:35]
	s_waitcnt lgkmcnt(0)
	v_cmp_lt_u64_e32 vcc, v[0:1], v[58:59]
	s_and_saveexec_b64 s[66:67], vcc
	s_cbranch_execz .LBB12_743
; %bb.683:                              ;   in Loop: Header=BB12_79 Depth=1
	s_mov_b32 s78, 0
	s_mov_b64 s[68:69], 0
                                        ; implicit-def: $sgpr70_sgpr71
                                        ; implicit-def: $sgpr72_sgpr73
	s_branch .LBB12_685
.LBB12_684:                             ;   in Loop: Header=BB12_685 Depth=2
	s_or_b64 exec, exec, s[76:77]
	s_and_b64 vcc, exec, vcc
	s_or_b64 s[68:69], vcc, s[68:69]
	s_andn2_b64 vcc, s[70:71], exec
	s_and_b64 s[70:71], s[72:73], exec
	s_or_b64 s[70:71], vcc, s[70:71]
	s_andn2_b64 exec, exec, s[68:69]
	s_cbranch_execz .LBB12_741
.LBB12_685:                             ;   Parent Loop BB12_79 Depth=1
                                        ; =>  This Inner Loop Header: Depth=2
	s_add_i32 s78, s78, 1
	s_cmpk_lg_i32 s78, 0x2710
	s_cselect_b64 s[74:75], -1, 0
	s_and_b64 vcc, exec, s[74:75]
                                        ; implicit-def: $sgpr76_sgpr77
	s_cbranch_vccnz .LBB12_687
; %bb.686:                              ;   in Loop: Header=BB12_685 Depth=2
	s_trap 2
	ds_read_b64 v[0:1], v0
	s_andn2_b64 s[74:75], s[74:75], exec
	s_mov_b32 s78, 0
	s_mov_b64 s[76:77], -1
	s_waitcnt vmcnt(0) lgkmcnt(0)
	flat_load_dword v0, v[0:1] sc0 sc1
	s_waitcnt vmcnt(0) lgkmcnt(0)
	buffer_inv sc0 sc1
	v_cmp_eq_u32_e32 vcc, 0, v0
	s_and_b64 vcc, vcc, exec
	s_or_b64 s[74:75], s[74:75], vcc
.LBB12_687:                             ;   in Loop: Header=BB12_685 Depth=2
	s_andn2_b64 s[72:73], s[72:73], exec
	s_and_b64 s[76:77], s[76:77], exec
	s_mov_b64 vcc, -1
	s_or_b64 s[72:73], s[72:73], s[76:77]
	s_and_saveexec_b64 s[76:77], s[74:75]
	s_cbranch_execz .LBB12_684
; %bb.688:                              ;   in Loop: Header=BB12_685 Depth=2
	s_sleep 1
	s_trap 2
	ds_read_b64 v[0:1], v0
	s_andn2_b64 s[72:73], s[72:73], exec
	s_waitcnt lgkmcnt(0)
	v_cmp_ge_u64_e32 vcc, v[0:1], v[58:59]
	s_orn2_b64 vcc, vcc, exec
	s_branch .LBB12_684
.LBB12_689:                             ;   in Loop: Header=BB12_79 Depth=1
	s_or_b64 exec, exec, s[66:67]
	s_and_saveexec_b64 vcc, s[68:69]
	s_xor_b64 vcc, exec, vcc
	s_cbranch_execz .LBB12_691
; %bb.690:                              ;   in Loop: Header=BB12_79 Depth=1
	ds_write_b32 v0, v39
	s_trap 2
.LBB12_691:                             ;   in Loop: Header=BB12_79 Depth=1
	s_or_b64 exec, exec, s[64:65]
	;;#ASMSTART
	s_wakeup
	;;#ASMEND
.LBB12_692:                             ;   in Loop: Header=BB12_79 Depth=1
	s_or_b64 exec, exec, s[62:63]
.LBB12_693:                             ;   in Loop: Header=BB12_79 Depth=1
	s_andn2_saveexec_b64 vcc, s[60:61]
	s_cbranch_execz .LBB12_695
; %bb.694:                              ;   in Loop: Header=BB12_79 Depth=1
	s_waitcnt lgkmcnt(0)
	s_barrier
.LBB12_695:                             ;   in Loop: Header=BB12_79 Depth=1
	s_or_b64 exec, exec, vcc
.LBB12_696:                             ;   in Loop: Header=BB12_79 Depth=1
	s_or_b64 exec, exec, s[30:31]
	s_trap 2
	ds_read_b64 v[0:1], v0
	v_min_i32_e32 v60, v60, v31
	s_mov_b64 s[30:31], 0
	s_waitcnt lgkmcnt(0)
	v_readfirstlane_b32 vcc_lo, v0
	v_readfirstlane_b32 vcc_hi, v1
	s_cmp_eq_u64 vcc, 0
	s_cselect_b64 vcc, -1, 0
	s_or_b64 vcc, vcc, vcc
	s_and_b64 vcc, exec, vcc
	s_cbranch_vccnz .LBB12_729
; %bb.697:                              ;   in Loop: Header=BB12_79 Depth=1
	s_mov_b64 s[30:31], -1
	s_and_saveexec_b64 s[60:61], s[18:19]
	s_cbranch_execz .LBB12_699
; %bb.698:                              ;   in Loop: Header=BB12_79 Depth=1
	ds_read_b32 v0, v0 offset:720
	s_waitcnt lgkmcnt(0)
	v_and_b32_e32 v0, 15, v0
	v_cmp_eq_u32_e32 vcc, 0, v0
	s_orn2_b64 s[30:31], vcc, exec
.LBB12_699:                             ;   in Loop: Header=BB12_79 Depth=1
	s_or_b64 exec, exec, s[60:61]
	s_and_saveexec_b64 s[60:61], s[22:23]
	s_cbranch_execz .LBB12_701
; %bb.700:                              ;   in Loop: Header=BB12_79 Depth=1
	ds_read_b32 v0, v0 offset:784
	s_waitcnt lgkmcnt(0)
	v_and_b32_e32 v0, 15, v0
	v_cmp_eq_u32_e32 vcc, 0, v0
	s_and_b64 vcc, s[30:31], vcc
	s_andn2_b64 s[30:31], s[30:31], exec
	s_and_b64 vcc, vcc, exec
	s_or_b64 s[30:31], s[30:31], vcc
.LBB12_701:                             ;   in Loop: Header=BB12_79 Depth=1
	s_or_b64 exec, exec, s[60:61]
	v_cmp_eq_u32_e32 vcc, 0, v10
	v_mov_b32_e32 v22, 0
	s_mov_b64 s[62:63], -1
	v_cndmask_b32_e32 v30, 0, v60, vcc
	s_xor_b64 vcc, s[30:31], -1
	v_cndmask_b32_e64 v0, 0, 1, vcc
	;;#ASMSTART
	;;#ASMEND
	v_mov_b32_e32 v48, v30
	v_cmp_ne_u32_e32 vcc, 0, v0
	v_mov_b32_e32 v18, v44
	v_mov_b32_e32 v12, v29
	s_cbranch_vccnz .LBB12_715
; %bb.702:                              ;   in Loop: Header=BB12_79 Depth=1
	v_ashrrev_i32_e32 v0, 31, v30
	v_lshrrev_b32_e32 v0, 19, v0
	v_add_u32_e32 v0, v30, v0
	v_ashrrev_i32_e32 v0, 13, v0
	v_sub_u32_e32 v1, v0, v29
	v_cmp_lt_i32_e32 vcc, 0, v1
	s_and_saveexec_b64 s[60:61], vcc
	s_cbranch_execz .LBB12_706
; %bb.703:                              ;   in Loop: Header=BB12_79 Depth=1
	v_accvgpr_write_b32 a39, v30
	v_mov_b32_e32 v61, v31
	s_trap 2
	scratch_load_dwordx2 v[30:31], off, s33 offset:136 ; 8-byte Folded Reload
	ds_read_b64 v[10:11], v0
	v_accvgpr_write_b32 a18, v58
	v_accvgpr_read_b32 v47, a37
	v_accvgpr_write_b32 a13, v57
	v_accvgpr_write_b32 a19, v59
	s_mov_b64 s[62:63], 0
	s_waitcnt lgkmcnt(0)
	v_mov_b64_e32 v[12:13], v[10:11]
	v_accvgpr_read_b32 v46, a36
.LBB12_704:                             ;   Parent Loop BB12_79 Depth=1
                                        ; =>  This Inner Loop Header: Depth=2
	s_waitcnt vmcnt(0)
	v_lshl_add_u64 v[2:3], v[30:31], 0, v[12:13]
	global_load_dwordx4 v[14:17], v[2:3], off nt
	global_load_dwordx4 v[22:25], v[2:3], off offset:1024 nt
	global_load_dwordx4 v[26:29], v[2:3], off offset:2048 nt
	;; [unrolled: 1-line block ×3, first 2 shown]
	v_add_co_u32_e32 v2, vcc, 0x1000, v2
	v_sub_u32_e32 v1, v1, v34
	s_nop 0
	v_addc_co_u32_e32 v3, vcc, 0, v3, vcc
	global_load_dwordx4 v[52:55], v[2:3], off nt
	global_load_dwordx4 v[42:45], v[2:3], off offset:1024 nt
	global_load_dwordx4 v[56:59], v[2:3], off offset:2048 nt
	s_nop 0
	global_load_dwordx4 v[2:5], v[2:3], off offset:3072 nt
	v_lshl_add_u64 v[18:19], v[30:31], 0, v[10:11]
	v_cmp_gt_i32_e64 s[30:31], 1, v1
	v_lshl_add_u64 v[12:13], v[12:13], 0, v[46:47]
	v_lshl_add_u64 v[10:11], v[10:11], 0, v[46:47]
	v_add_co_u32_e32 v38, vcc, 0x1000, v18
	s_or_b64 s[62:63], s[30:31], s[62:63]
	s_nop 0
	v_addc_co_u32_e32 v39, vcc, 0, v19, vcc
	s_waitcnt vmcnt(7)
	global_store_dwordx4 v[18:19], v[14:17], off nt
	s_waitcnt vmcnt(7)
	global_store_dwordx4 v[18:19], v[22:25], off offset:1024 nt
	s_waitcnt vmcnt(7)
	global_store_dwordx4 v[18:19], v[26:29], off offset:2048 nt
	;; [unrolled: 2-line block ×3, first 2 shown]
	s_waitcnt vmcnt(7)
	global_store_dwordx4 v[38:39], v[52:55], off nt
	s_waitcnt vmcnt(7)
	global_store_dwordx4 v[38:39], v[42:45], off offset:1024 nt
	s_waitcnt vmcnt(7)
	global_store_dwordx4 v[38:39], v[56:59], off offset:2048 nt
	;; [unrolled: 2-line block ×3, first 2 shown]
	s_andn2_b64 exec, exec, s[62:63]
	s_cbranch_execnz .LBB12_704
; %bb.705:                              ;   in Loop: Header=BB12_79 Depth=1
	s_or_b64 exec, exec, s[62:63]
	v_accvgpr_read_b32 v53, a5
	v_accvgpr_read_b32 v55, a15
	;; [unrolled: 1-line block ×18, first 2 shown]
	v_mov_b32_e32 v39, 1
	v_accvgpr_read_b32 v26, a22
	v_accvgpr_read_b32 v28, a24
	v_accvgpr_read_b32 v25, a27
	v_accvgpr_read_b32 v15, a31
	v_accvgpr_read_b32 v29, a25
	v_accvgpr_read_b32 v5, a33
	v_accvgpr_read_b32 v50, a34
	v_accvgpr_read_b32 v46, a40
	v_mov_b32_e32 v31, v61
	v_accvgpr_read_b32 v30, a39
.LBB12_706:                             ;   in Loop: Header=BB12_79 Depth=1
	s_or_b64 exec, exec, s[60:61]
	v_lshlrev_b32_e32 v0, 13, v0
	v_cmp_ne_u32_e32 vcc, v30, v0
	s_mov_b64 s[62:63], 0
	v_mov_b32_e32 v22, 0
                                        ; implicit-def: $vgpr48
                                        ; implicit-def: $vgpr18
                                        ; implicit-def: $vgpr12
	s_and_saveexec_b64 s[60:61], vcc
	s_cbranch_execz .LBB12_714
; %bb.707:                              ;   in Loop: Header=BB12_79 Depth=1
	v_lshlrev_b32_e32 v1, 6, v1
	v_accvgpr_read_b32 v3, a38
	v_sub_u32_e32 v1, v3, v1
	v_ashrrev_i32_e32 v3, 31, v1
	v_lshrrev_b32_e32 v3, 26, v3
	v_add_u32_e32 v3, v1, v3
	v_ashrrev_i32_e32 v4, 6, v3
	v_and_b32_e32 v3, 0xffffffc0, v3
	v_sub_u32_e32 v1, v1, v3
	v_sub_u32_e32 v2, v30, v0
	v_lshlrev_b32_e32 v3, 4, v1
	v_lshl_add_u32 v12, v4, 10, v3
	v_ashrrev_i32_e32 v3, 31, v2
	v_lshrrev_b32_e32 v3, 22, v3
	v_add_u32_e32 v3, v2, v3
	v_and_b32_e32 v14, 0xfffffc00, v3
	v_sub_u32_e32 v16, v2, v14
	v_ashrrev_i32_e32 v5, 10, v3
	v_cmp_lt_i32_e32 vcc, 15, v16
	v_sub_u32_e32 v17, v2, v12
	s_nop 0
	v_addc_co_u32_e64 v2, s[30:31], 0, v5, vcc
	v_sub_u32_e32 v15, v2, v4
	v_cmp_lt_i32_e64 s[30:31], 15, v17
	s_and_saveexec_b64 s[62:63], s[30:31]
	s_cbranch_execz .LBB12_711
; %bb.708:                              ;   in Loop: Header=BB12_79 Depth=1
	s_trap 2
	ds_read_b64 v[10:11], v0
	v_add_u32_e32 v12, v12, v0
	v_ashrrev_i32_e32 v13, 31, v12
	s_mov_b64 s[64:65], 0
.LBB12_709:                             ;   Parent Loop BB12_79 Depth=1
                                        ; =>  This Inner Loop Header: Depth=2
	s_waitcnt lgkmcnt(0)
	v_lshl_add_u64 v[18:19], v[10:11], 0, v[12:13]
	global_load_dwordx4 v[2:5], v[18:19], off nt
	v_sub_u32_e32 v17, v17, v28
	v_cmp_gt_i32_e64 s[30:31], 16, v17
	v_sub_u32_e32 v15, v15, v34
	v_lshl_add_u64 v[12:13], v[12:13], 0, v[46:47]
	s_or_b64 s[64:65], s[30:31], s[64:65]
	s_waitcnt vmcnt(0)
	global_store_dwordx4 v[18:19], v[2:5], off nt
	s_andn2_b64 exec, exec, s[64:65]
	s_cbranch_execnz .LBB12_709
; %bb.710:                              ;   in Loop: Header=BB12_79 Depth=1
	s_or_b64 exec, exec, s[64:65]
.LBB12_711:                             ;   in Loop: Header=BB12_79 Depth=1
	s_or_b64 exec, exec, s[62:63]
	v_and_b32_e32 v10, 15, v30
	v_cndmask_b32_e32 v48, v16, v10, vcc
	s_mov_b64 s[62:63], 0
	v_mov_b32_e32 v22, 0
	v_cmp_ne_u32_e64 s[30:31], 0, v48
                                        ; implicit-def: $vgpr18
                                        ; implicit-def: $vgpr12
	s_mov_b64 s[64:65], exec
	v_accvgpr_read_b32 v4, a32
	s_and_b64 s[30:31], s[64:65], s[30:31]
	v_accvgpr_read_b32 v5, a33
	s_mov_b64 exec, s[30:31]
	s_cbranch_execz .LBB12_713
; %bb.712:                              ;   in Loop: Header=BB12_79 Depth=1
	v_sub_u32_e32 v2, v16, v10
	v_cndmask_b32_e32 v2, 0, v2, vcc
	v_cmp_lt_i32_e32 vcc, 0, v15
	v_add3_u32 v22, v14, v0, v2
	s_mov_b64 s[62:63], exec
	v_cndmask_b32_e32 v0, 0, v34, vcc
	v_sub_u32_e32 v0, v0, v15
	v_lshl_add_u32 v18, v0, 6, v1
	v_ashrrev_i32_e32 v0, 31, v18
	v_lshrrev_b32_e32 v0, 26, v0
	v_add_u32_e32 v0, v18, v0
	v_ashrrev_i32_e32 v12, 6, v0
.LBB12_713:                             ;   in Loop: Header=BB12_79 Depth=1
	s_or_b64 exec, exec, s[64:65]
	v_accvgpr_read_b32 v14, a30
	s_and_b64 s[62:63], s[62:63], exec
	v_accvgpr_read_b32 v15, a31
.LBB12_714:                             ;   in Loop: Header=BB12_79 Depth=1
	s_or_b64 exec, exec, s[60:61]
.LBB12_715:                             ;   in Loop: Header=BB12_79 Depth=1
	s_and_saveexec_b64 s[30:31], s[62:63]
	s_cbranch_execz .LBB12_724
; %bb.716:                              ;   in Loop: Header=BB12_79 Depth=1
	v_ashrrev_i32_e32 v0, 31, v48
	v_lshrrev_b32_e32 v0, 21, v0
	v_add_u32_e32 v0, v48, v0
	v_ashrrev_i32_e32 v2, 11, v0
	v_sub_u32_e32 v0, v2, v12
	v_ashrrev_i32_e32 v1, 31, v18
	v_cmp_lt_i32_e32 vcc, 0, v0
	v_lshrrev_b32_e32 v1, 26, v1
	s_and_saveexec_b64 s[60:61], vcc
	s_cbranch_execz .LBB12_720
; %bb.717:                              ;   in Loop: Header=BB12_79 Depth=1
	s_trap 2
	ds_read_b64 v[10:11], v0
	v_accvgpr_write_b32 a46, v2
	v_add_u32_e32 v2, v18, v1
	v_and_b32_e32 v2, 0xffffffc0, v2
	v_sub_u32_e32 v2, v18, v2
	v_lshlrev_b32_e32 v3, 11, v12
	v_accvgpr_write_b32 a18, v58
	v_add3_u32 v12, v22, v2, v3
	v_accvgpr_write_b32 a13, v57
	v_accvgpr_write_b32 a19, v59
	;; [unrolled: 1-line block ×3, first 2 shown]
	v_ashrrev_i32_e32 v13, 31, v12
	s_mov_b64 s[62:63], 0
	s_waitcnt lgkmcnt(0)
	v_mov_b64_e32 v[16:17], v[10:11]
.LBB12_718:                             ;   Parent Loop BB12_79 Depth=1
                                        ; =>  This Inner Loop Header: Depth=2
	v_lshl_add_u64 v[2:3], v[12:13], 0, v[16:17]
	flat_load_ubyte v4, v[2:3] nt
	flat_load_ubyte v5, v[2:3] offset:64 nt
	flat_load_ubyte v14, v[2:3] offset:128 nt
	;; [unrolled: 1-line block ×30, first 2 shown]
	s_nop 0
	flat_load_ubyte v2, v[2:3] offset:1984 nt
	v_sub_u32_e32 v0, v0, v34
	v_cmp_gt_i32_e32 vcc, 1, v0
	v_lshl_add_u64 v[50:51], v[12:13], 0, v[10:11]
	v_lshl_add_u64 v[16:17], v[16:17], 0, v[40:41]
	;; [unrolled: 1-line block ×3, first 2 shown]
	s_or_b64 s[62:63], vcc, s[62:63]
	s_waitcnt vmcnt(0) lgkmcnt(0)
	flat_store_byte v[50:51], v4 nt
	flat_store_byte v[50:51], v5 offset:64 nt
	flat_store_byte v[50:51], v14 offset:128 nt
	;; [unrolled: 1-line block ×31, first 2 shown]
	s_andn2_b64 exec, exec, s[62:63]
	s_cbranch_execnz .LBB12_718
; %bb.719:                              ;   in Loop: Header=BB12_79 Depth=1
	s_or_b64 exec, exec, s[62:63]
	v_accvgpr_mov_b32 a45, a3
	v_accvgpr_read_b32 v53, a5
	v_accvgpr_read_b32 v55, a15
	;; [unrolled: 1-line block ×10, first 2 shown]
	v_accvgpr_mov_b32 a44, a2
	v_accvgpr_read_b32 v52, a4
	v_accvgpr_read_b32 v44, a6
	;; [unrolled: 1-line block ×8, first 2 shown]
	v_mov_b32_e32 v39, 1
	v_accvgpr_read_b32 v26, a22
	v_accvgpr_read_b32 v28, a24
	;; [unrolled: 1-line block ×10, first 2 shown]
.LBB12_720:                             ;   in Loop: Header=BB12_79 Depth=1
	s_or_b64 exec, exec, s[60:61]
	v_lshlrev_b32_e32 v10, 11, v2
	v_cmp_ne_u32_e32 vcc, v48, v10
	s_and_b64 exec, exec, vcc
	s_cbranch_execz .LBB12_724
; %bb.721:                              ;   in Loop: Header=BB12_79 Depth=1
	v_add_u32_e32 v1, v18, v1
	v_and_b32_e32 v1, 0xffffffc0, v1
	v_sub_u32_e32 v1, v18, v1
	v_lshlrev_b32_e32 v0, 6, v0
	v_sub_u32_e32 v0, v1, v0
	v_add_u32_e32 v1, v10, v0
	v_sub_u32_e32 v0, v48, v1
	v_cmp_lt_i32_e32 vcc, 0, v0
	s_and_b64 exec, exec, vcc
	s_cbranch_execz .LBB12_724
; %bb.722:                              ;   in Loop: Header=BB12_79 Depth=1
	s_trap 2
	ds_read_b64 v[10:11], v0
	v_add_u32_e32 v12, v1, v22
	v_ashrrev_i32_e32 v13, 31, v12
	s_mov_b64 s[60:61], 0
.LBB12_723:                             ;   Parent Loop BB12_79 Depth=1
                                        ; =>  This Inner Loop Header: Depth=2
	s_waitcnt lgkmcnt(0)
	v_lshl_add_u64 v[2:3], v[10:11], 0, v[12:13]
	flat_load_ubyte v1, v[2:3] nt
	v_sub_u32_e32 v0, v0, v45
	v_cmp_gt_i32_e32 vcc, 1, v0
	v_lshl_add_u64 v[12:13], v[12:13], 0, v[50:51]
	s_or_b64 s[60:61], vcc, s[60:61]
	s_waitcnt vmcnt(0) lgkmcnt(0)
	flat_store_byte v[2:3], v1 nt
	s_andn2_b64 exec, exec, s[60:61]
	s_cbranch_execnz .LBB12_723
.LBB12_724:                             ;   in Loop: Header=BB12_79 Depth=1
	s_or_b64 exec, exec, s[30:31]
	v_cmp_lt_i32_e64 s[30:31], 0, v30
	s_and_saveexec_b64 s[60:61], s[10:11]
	s_cbranch_execnz .LBB12_730
.LBB12_725:                             ;   in Loop: Header=BB12_79 Depth=1
	s_or_b64 exec, exec, s[60:61]
	s_and_saveexec_b64 vcc, s[24:25]
	s_xor_b64 s[60:61], exec, vcc
	s_cbranch_execz .LBB12_801
.LBB12_726:                             ;   in Loop: Header=BB12_79 Depth=1
	v_and_b32_e32 v0, 16, v62
	v_cmp_ne_u32_e32 vcc, 0, v0
	s_and_b64 s[30:31], vcc, s[30:31]
	s_and_saveexec_b64 vcc, s[30:31]
	s_cbranch_execz .LBB12_728
; %bb.727:                              ;   in Loop: Header=BB12_79 Depth=1
	buffer_wbl2 sc1
	s_waitcnt vmcnt(0) lgkmcnt(0)
	buffer_inv sc1
.LBB12_728:                             ;   in Loop: Header=BB12_79 Depth=1
	s_or_b64 exec, exec, vcc
	s_andn2_saveexec_b64 s[30:31], s[60:61]
	s_cbranch_execz .LBB12_839
	s_branch .LBB12_802
.LBB12_729:                             ;   in Loop: Header=BB12_79 Depth=1
	s_and_saveexec_b64 s[60:61], s[10:11]
	s_cbranch_execz .LBB12_725
.LBB12_730:                             ;   in Loop: Header=BB12_79 Depth=1
	s_and_saveexec_b64 vcc, s[46:47]
	s_xor_b64 s[62:63], exec, vcc
	s_cbranch_execz .LBB12_798
; %bb.731:                              ;   in Loop: Header=BB12_79 Depth=1
	s_and_saveexec_b64 s[64:65], s[16:17]
	s_cbranch_execz .LBB12_797
; %bb.732:                              ;   in Loop: Header=BB12_79 Depth=1
	s_mov_b64 s[68:69], exec
	v_mbcnt_lo_u32_b32 v0, s68, 0
	v_mbcnt_hi_u32_b32 v0, s69, v0
	v_cmp_eq_u32_e32 vcc, 0, v0
	s_waitcnt lgkmcnt(0)
	s_and_saveexec_b64 s[66:67], vcc
	s_cbranch_execz .LBB12_734
; %bb.733:                              ;   in Loop: Header=BB12_79 Depth=1
	s_bcnt1_i32_b64 vcc_lo, s[68:69]
	v_mov_b32_e32 v56, vcc_lo
	ds_add_u64 v0, v[56:57]
	s_trap 2
.LBB12_734:                             ;   in Loop: Header=BB12_79 Depth=1
	s_or_b64 exec, exec, s[66:67]
	s_trap 2
	ds_read_b64 v[0:1], v0
	v_lshl_add_u64 v[58:59], v[58:59], 0, v[34:35]
	s_waitcnt lgkmcnt(0)
	v_cmp_lt_u64_e32 vcc, v[0:1], v[58:59]
	s_and_saveexec_b64 s[66:67], vcc
	s_cbranch_execz .LBB12_796
; %bb.735:                              ;   in Loop: Header=BB12_79 Depth=1
	s_mov_b32 s78, 0
	s_mov_b64 s[68:69], 0
                                        ; implicit-def: $sgpr70_sgpr71
                                        ; implicit-def: $sgpr72_sgpr73
	s_branch .LBB12_737
.LBB12_736:                             ;   in Loop: Header=BB12_737 Depth=2
	s_or_b64 exec, exec, s[76:77]
	s_and_b64 vcc, exec, vcc
	s_or_b64 s[68:69], vcc, s[68:69]
	s_andn2_b64 vcc, s[70:71], exec
	s_and_b64 s[70:71], s[72:73], exec
	s_or_b64 s[70:71], vcc, s[70:71]
	s_andn2_b64 exec, exec, s[68:69]
	s_cbranch_execz .LBB12_794
.LBB12_737:                             ;   Parent Loop BB12_79 Depth=1
                                        ; =>  This Inner Loop Header: Depth=2
	s_add_i32 s78, s78, 1
	s_cmpk_lg_i32 s78, 0x2710
	s_cselect_b64 s[74:75], -1, 0
	s_and_b64 vcc, exec, s[74:75]
                                        ; implicit-def: $sgpr76_sgpr77
	s_cbranch_vccnz .LBB12_739
; %bb.738:                              ;   in Loop: Header=BB12_737 Depth=2
	s_trap 2
	ds_read_b64 v[0:1], v0
	s_andn2_b64 s[74:75], s[74:75], exec
	s_mov_b32 s78, 0
	s_mov_b64 s[76:77], -1
	s_waitcnt vmcnt(0) lgkmcnt(0)
	flat_load_dword v0, v[0:1] sc0 sc1
	s_waitcnt vmcnt(0) lgkmcnt(0)
	buffer_inv sc0 sc1
	v_cmp_eq_u32_e32 vcc, 0, v0
	s_and_b64 vcc, vcc, exec
	s_or_b64 s[74:75], s[74:75], vcc
.LBB12_739:                             ;   in Loop: Header=BB12_737 Depth=2
	s_andn2_b64 s[72:73], s[72:73], exec
	s_and_b64 s[76:77], s[76:77], exec
	s_mov_b64 vcc, -1
	s_or_b64 s[72:73], s[72:73], s[76:77]
	s_and_saveexec_b64 s[76:77], s[74:75]
	s_cbranch_execz .LBB12_736
; %bb.740:                              ;   in Loop: Header=BB12_737 Depth=2
	s_sleep 1
	s_trap 2
	ds_read_b64 v[0:1], v0
	s_andn2_b64 s[72:73], s[72:73], exec
	s_waitcnt lgkmcnt(0)
	v_cmp_ge_u64_e32 vcc, v[0:1], v[58:59]
	s_orn2_b64 vcc, vcc, exec
	s_branch .LBB12_736
.LBB12_741:                             ;   in Loop: Header=BB12_79 Depth=1
	s_or_b64 exec, exec, s[68:69]
	s_and_saveexec_b64 vcc, s[70:71]
	s_xor_b64 vcc, exec, vcc
	s_cbranch_execz .LBB12_743
; %bb.742:                              ;   in Loop: Header=BB12_79 Depth=1
	ds_write_b32 v0, v39
	s_trap 2
.LBB12_743:                             ;   in Loop: Header=BB12_79 Depth=1
	s_or_b64 exec, exec, s[66:67]
	;;#ASMSTART
	s_wakeup
	;;#ASMEND
.LBB12_744:                             ;   in Loop: Header=BB12_79 Depth=1
	s_or_b64 exec, exec, s[64:65]
.LBB12_745:                             ;   in Loop: Header=BB12_79 Depth=1
	s_andn2_saveexec_b64 vcc, s[62:63]
	s_cbranch_execz .LBB12_747
; %bb.746:                              ;   in Loop: Header=BB12_79 Depth=1
	s_waitcnt lgkmcnt(0)
	s_barrier
.LBB12_747:                             ;   in Loop: Header=BB12_79 Depth=1
	s_or_b64 exec, exec, vcc
.LBB12_748:                             ;   in Loop: Header=BB12_79 Depth=1
	s_or_b64 exec, exec, s[28:29]
	s_trap 2
	ds_read_b64 v[0:1], v0
	s_waitcnt lgkmcnt(0)
	v_readfirstlane_b32 s28, v0
	v_readfirstlane_b32 s29, v1
	s_cmp_eq_u64 s[28:29], 0
	s_cselect_b64 s[28:29], -1, 0
	s_or_b64 vcc, s[28:29], s[28:29]
	s_mov_b64 s[28:29], 0
	s_and_b64 vcc, exec, vcc
	s_cbranch_vccnz .LBB12_782
; %bb.749:                              ;   in Loop: Header=BB12_79 Depth=1
	s_mov_b64 s[28:29], -1
	s_and_saveexec_b64 s[62:63], s[22:23]
	s_cbranch_execz .LBB12_751
; %bb.750:                              ;   in Loop: Header=BB12_79 Depth=1
	ds_read_b32 v0, v0 offset:720
	s_waitcnt lgkmcnt(0)
	v_and_b32_e32 v0, 15, v0
	v_cmp_eq_u32_e32 vcc, 0, v0
	s_orn2_b64 s[28:29], vcc, exec
.LBB12_751:                             ;   in Loop: Header=BB12_79 Depth=1
	s_or_b64 exec, exec, s[62:63]
	s_and_saveexec_b64 s[62:63], s[18:19]
	s_cbranch_execz .LBB12_753
; %bb.752:                              ;   in Loop: Header=BB12_79 Depth=1
	ds_read_b32 v0, v0 offset:784
	s_waitcnt lgkmcnt(0)
	v_and_b32_e32 v0, 15, v0
	v_cmp_eq_u32_e32 vcc, 0, v0
	s_and_b64 vcc, s[28:29], vcc
	s_andn2_b64 s[28:29], s[28:29], exec
	s_and_b64 vcc, vcc, exec
	s_or_b64 s[28:29], s[28:29], vcc
.LBB12_753:                             ;   in Loop: Header=BB12_79 Depth=1
	s_or_b64 exec, exec, s[62:63]
	v_cmp_eq_u32_e32 vcc, 0, v10
	s_xor_b64 s[28:29], s[28:29], -1
	v_cndmask_b32_e64 v0, 0, 1, s[28:29]
	v_cndmask_b32_e32 v30, 0, v60, vcc
	v_mov_b32_e32 v22, 0
	s_mov_b64 s[64:65], -1
	;;#ASMSTART
	;;#ASMEND
	v_mov_b32_e32 v48, v30
	v_cmp_ne_u32_e32 vcc, 0, v0
	v_mov_b32_e32 v18, v44
	v_mov_b32_e32 v12, v29
	s_cbranch_vccnz .LBB12_767
; %bb.754:                              ;   in Loop: Header=BB12_79 Depth=1
	v_ashrrev_i32_e32 v0, 31, v30
	v_lshrrev_b32_e32 v0, 19, v0
	v_add_u32_e32 v0, v30, v0
	v_ashrrev_i32_e32 v0, 13, v0
	v_sub_u32_e32 v1, v0, v29
	v_cmp_lt_i32_e32 vcc, 0, v1
	s_and_saveexec_b64 s[62:63], vcc
	s_cbranch_execz .LBB12_758
; %bb.755:                              ;   in Loop: Header=BB12_79 Depth=1
	s_trap 2
	ds_read_b64 v[10:11], v0
	v_accvgpr_write_b32 a18, v58
	v_accvgpr_read_b32 v47, a37
	v_accvgpr_write_b32 a13, v57
	v_accvgpr_write_b32 a19, v59
	s_mov_b64 s[64:65], 0
	s_waitcnt lgkmcnt(0)
	v_mov_b64_e32 v[12:13], v[10:11]
	v_accvgpr_read_b32 v46, a36
.LBB12_756:                             ;   Parent Loop BB12_79 Depth=1
                                        ; =>  This Inner Loop Header: Depth=2
	s_waitcnt vmcnt(0)
	v_lshl_add_u64 v[2:3], v[16:17], 0, v[12:13]
	v_add_co_u32_e32 v18, vcc, 0x1000, v2
	global_load_dwordx4 v[14:17], v[2:3], off nt
	global_load_dwordx4 v[22:25], v[2:3], off offset:1024 nt
	global_load_dwordx4 v[48:51], v[2:3], off offset:2048 nt
	;; [unrolled: 1-line block ×3, first 2 shown]
	v_addc_co_u32_e32 v19, vcc, 0, v3, vcc
	global_load_dwordx4 v[56:59], v[18:19], off nt
	global_load_dwordx4 v[42:45], v[18:19], off offset:1024 nt
	global_load_dwordx4 v[2:5], v[18:19], off offset:2048 nt
	;; [unrolled: 1-line block ×3, first 2 shown]
	s_nop 0
	scratch_load_dwordx2 v[18:19], off, s33 offset:136 ; 8-byte Folded Reload
	v_sub_u32_e32 v1, v1, v34
	v_cmp_gt_i32_e64 s[28:29], 1, v1
	v_lshl_add_u64 v[12:13], v[12:13], 0, v[46:47]
	s_or_b64 s[64:65], s[28:29], s[64:65]
	s_waitcnt vmcnt(0)
	v_lshl_add_u64 v[18:19], v[18:19], 0, v[10:11]
	global_store_dwordx4 v[18:19], v[14:17], off nt
	scratch_load_dwordx2 v[16:17], off, s33 offset:136 ; 8-byte Folded Reload
	v_lshl_add_u64 v[10:11], v[10:11], 0, v[46:47]
	v_add_co_u32_e32 v38, vcc, 0x1000, v18
	s_nop 1
	v_addc_co_u32_e32 v39, vcc, 0, v19, vcc
	global_store_dwordx4 v[18:19], v[22:25], off offset:1024 nt
	global_store_dwordx4 v[18:19], v[48:51], off offset:2048 nt
	;; [unrolled: 1-line block ×3, first 2 shown]
	global_store_dwordx4 v[38:39], v[56:59], off nt
	global_store_dwordx4 v[38:39], v[42:45], off offset:1024 nt
	global_store_dwordx4 v[38:39], v[2:5], off offset:2048 nt
	;; [unrolled: 1-line block ×3, first 2 shown]
	s_andn2_b64 exec, exec, s[64:65]
	s_cbranch_execnz .LBB12_756
; %bb.757:                              ;   in Loop: Header=BB12_79 Depth=1
	s_or_b64 exec, exec, s[64:65]
	v_accvgpr_read_b32 v53, a5
	v_accvgpr_read_b32 v55, a15
	;; [unrolled: 1-line block ×18, first 2 shown]
	v_mov_b32_e32 v39, 1
	v_accvgpr_read_b32 v26, a22
	v_accvgpr_read_b32 v28, a24
	;; [unrolled: 1-line block ×8, first 2 shown]
.LBB12_758:                             ;   in Loop: Header=BB12_79 Depth=1
	s_or_b64 exec, exec, s[62:63]
	v_lshlrev_b32_e32 v0, 13, v0
	v_cmp_ne_u32_e32 vcc, v30, v0
	s_mov_b64 s[64:65], 0
	v_mov_b32_e32 v22, 0
                                        ; implicit-def: $vgpr48
                                        ; implicit-def: $vgpr18
                                        ; implicit-def: $vgpr12
	s_and_saveexec_b64 s[62:63], vcc
	s_cbranch_execz .LBB12_766
; %bb.759:                              ;   in Loop: Header=BB12_79 Depth=1
	v_lshlrev_b32_e32 v1, 6, v1
	v_accvgpr_read_b32 v3, a38
	v_sub_u32_e32 v1, v3, v1
	v_ashrrev_i32_e32 v3, 31, v1
	v_lshrrev_b32_e32 v3, 26, v3
	v_add_u32_e32 v3, v1, v3
	v_ashrrev_i32_e32 v4, 6, v3
	v_and_b32_e32 v3, 0xffffffc0, v3
	v_sub_u32_e32 v1, v1, v3
	v_sub_u32_e32 v2, v30, v0
	v_lshlrev_b32_e32 v3, 4, v1
	v_lshl_add_u32 v12, v4, 10, v3
	v_ashrrev_i32_e32 v3, 31, v2
	v_lshrrev_b32_e32 v3, 22, v3
	v_add_u32_e32 v3, v2, v3
	v_and_b32_e32 v14, 0xfffffc00, v3
	s_waitcnt vmcnt(0)
	v_sub_u32_e32 v16, v2, v14
	v_ashrrev_i32_e32 v5, 10, v3
	v_cmp_lt_i32_e32 vcc, 15, v16
	v_sub_u32_e32 v17, v2, v12
	s_nop 0
	v_addc_co_u32_e64 v2, s[28:29], 0, v5, vcc
	v_sub_u32_e32 v15, v2, v4
	v_cmp_lt_i32_e64 s[28:29], 15, v17
	s_and_saveexec_b64 s[64:65], s[28:29]
	s_cbranch_execz .LBB12_763
; %bb.760:                              ;   in Loop: Header=BB12_79 Depth=1
	s_trap 2
	ds_read_b64 v[10:11], v0
	v_add_u32_e32 v12, v12, v0
	v_ashrrev_i32_e32 v13, 31, v12
	s_mov_b64 s[66:67], 0
.LBB12_761:                             ;   Parent Loop BB12_79 Depth=1
                                        ; =>  This Inner Loop Header: Depth=2
	s_waitcnt lgkmcnt(0)
	v_lshl_add_u64 v[18:19], v[10:11], 0, v[12:13]
	global_load_dwordx4 v[2:5], v[18:19], off nt
	v_sub_u32_e32 v17, v17, v28
	v_cmp_gt_i32_e64 s[28:29], 16, v17
	v_sub_u32_e32 v15, v15, v34
	v_lshl_add_u64 v[12:13], v[12:13], 0, v[46:47]
	s_or_b64 s[66:67], s[28:29], s[66:67]
	s_waitcnt vmcnt(0)
	global_store_dwordx4 v[18:19], v[2:5], off nt
	s_andn2_b64 exec, exec, s[66:67]
	s_cbranch_execnz .LBB12_761
; %bb.762:                              ;   in Loop: Header=BB12_79 Depth=1
	s_or_b64 exec, exec, s[66:67]
.LBB12_763:                             ;   in Loop: Header=BB12_79 Depth=1
	s_or_b64 exec, exec, s[64:65]
	v_and_b32_e32 v10, 15, v30
	v_cndmask_b32_e32 v48, v16, v10, vcc
	s_mov_b64 s[64:65], 0
	v_mov_b32_e32 v22, 0
	v_cmp_ne_u32_e64 s[28:29], 0, v48
                                        ; implicit-def: $vgpr18
                                        ; implicit-def: $vgpr12
	s_mov_b64 s[66:67], exec
	v_accvgpr_read_b32 v4, a32
	s_and_b64 s[28:29], s[66:67], s[28:29]
	v_accvgpr_read_b32 v5, a33
	s_mov_b64 exec, s[28:29]
	s_cbranch_execz .LBB12_765
; %bb.764:                              ;   in Loop: Header=BB12_79 Depth=1
	v_sub_u32_e32 v2, v16, v10
	v_cndmask_b32_e32 v2, 0, v2, vcc
	v_cmp_lt_i32_e32 vcc, 0, v15
	v_add3_u32 v22, v14, v0, v2
	s_mov_b64 s[64:65], exec
	v_cndmask_b32_e32 v0, 0, v34, vcc
	v_sub_u32_e32 v0, v0, v15
	v_lshl_add_u32 v18, v0, 6, v1
	v_ashrrev_i32_e32 v0, 31, v18
	v_lshrrev_b32_e32 v0, 26, v0
	v_add_u32_e32 v0, v18, v0
	v_ashrrev_i32_e32 v12, 6, v0
.LBB12_765:                             ;   in Loop: Header=BB12_79 Depth=1
	s_or_b64 exec, exec, s[66:67]
	scratch_load_dwordx2 v[16:17], off, s33 offset:136 ; 8-byte Folded Reload
	v_accvgpr_read_b32 v14, a30
	s_and_b64 s[64:65], s[64:65], exec
	v_accvgpr_read_b32 v15, a31
.LBB12_766:                             ;   in Loop: Header=BB12_79 Depth=1
	s_or_b64 exec, exec, s[62:63]
.LBB12_767:                             ;   in Loop: Header=BB12_79 Depth=1
	s_and_saveexec_b64 s[28:29], s[64:65]
	s_cbranch_execz .LBB12_776
; %bb.768:                              ;   in Loop: Header=BB12_79 Depth=1
	v_ashrrev_i32_e32 v0, 31, v48
	v_lshrrev_b32_e32 v0, 21, v0
	v_add_u32_e32 v0, v48, v0
	v_ashrrev_i32_e32 v2, 11, v0
	v_sub_u32_e32 v0, v2, v12
	v_ashrrev_i32_e32 v1, 31, v18
	v_cmp_lt_i32_e32 vcc, 0, v0
	v_lshrrev_b32_e32 v1, 26, v1
	s_and_saveexec_b64 s[62:63], vcc
	s_cbranch_execz .LBB12_772
; %bb.769:                              ;   in Loop: Header=BB12_79 Depth=1
	s_trap 2
	ds_read_b64 v[10:11], v0
	v_accvgpr_write_b32 a46, v2
	v_add_u32_e32 v2, v18, v1
	v_and_b32_e32 v2, 0xffffffc0, v2
	v_sub_u32_e32 v2, v18, v2
	v_lshlrev_b32_e32 v3, 11, v12
	v_accvgpr_write_b32 a18, v58
	v_add3_u32 v12, v22, v2, v3
	v_accvgpr_write_b32 a13, v57
	v_accvgpr_write_b32 a19, v59
	;; [unrolled: 1-line block ×3, first 2 shown]
	v_ashrrev_i32_e32 v13, 31, v12
	s_mov_b64 s[64:65], 0
	s_waitcnt vmcnt(0) lgkmcnt(0)
	v_mov_b64_e32 v[16:17], v[10:11]
.LBB12_770:                             ;   Parent Loop BB12_79 Depth=1
                                        ; =>  This Inner Loop Header: Depth=2
	v_lshl_add_u64 v[2:3], v[12:13], 0, v[16:17]
	flat_load_ubyte v4, v[2:3] nt
	flat_load_ubyte v5, v[2:3] offset:64 nt
	flat_load_ubyte v14, v[2:3] offset:128 nt
	;; [unrolled: 1-line block ×30, first 2 shown]
	s_nop 0
	flat_load_ubyte v2, v[2:3] offset:1984 nt
	v_sub_u32_e32 v0, v0, v34
	v_cmp_gt_i32_e32 vcc, 1, v0
	v_lshl_add_u64 v[50:51], v[12:13], 0, v[10:11]
	v_lshl_add_u64 v[16:17], v[16:17], 0, v[40:41]
	;; [unrolled: 1-line block ×3, first 2 shown]
	s_or_b64 s[64:65], vcc, s[64:65]
	s_waitcnt vmcnt(0) lgkmcnt(0)
	flat_store_byte v[50:51], v4 nt
	flat_store_byte v[50:51], v5 offset:64 nt
	flat_store_byte v[50:51], v14 offset:128 nt
	;; [unrolled: 1-line block ×31, first 2 shown]
	s_andn2_b64 exec, exec, s[64:65]
	s_cbranch_execnz .LBB12_770
; %bb.771:                              ;   in Loop: Header=BB12_79 Depth=1
	s_or_b64 exec, exec, s[64:65]
	scratch_load_dwordx2 v[16:17], off, s33 offset:136 ; 8-byte Folded Reload
	v_accvgpr_mov_b32 a45, a3
	v_accvgpr_read_b32 v53, a5
	v_accvgpr_read_b32 v55, a15
	;; [unrolled: 1-line block ×10, first 2 shown]
	v_accvgpr_mov_b32 a44, a2
	v_accvgpr_read_b32 v52, a4
	v_accvgpr_read_b32 v44, a6
	;; [unrolled: 1-line block ×8, first 2 shown]
	v_mov_b32_e32 v39, 1
	v_accvgpr_read_b32 v26, a22
	v_accvgpr_read_b32 v28, a24
	;; [unrolled: 1-line block ×10, first 2 shown]
.LBB12_772:                             ;   in Loop: Header=BB12_79 Depth=1
	s_or_b64 exec, exec, s[62:63]
	v_lshlrev_b32_e32 v10, 11, v2
	v_cmp_ne_u32_e32 vcc, v48, v10
	s_and_b64 exec, exec, vcc
	s_cbranch_execz .LBB12_776
; %bb.773:                              ;   in Loop: Header=BB12_79 Depth=1
	v_add_u32_e32 v1, v18, v1
	v_and_b32_e32 v1, 0xffffffc0, v1
	v_sub_u32_e32 v1, v18, v1
	v_lshlrev_b32_e32 v0, 6, v0
	v_sub_u32_e32 v0, v1, v0
	v_add_u32_e32 v1, v10, v0
	v_sub_u32_e32 v0, v48, v1
	v_cmp_lt_i32_e32 vcc, 0, v0
	s_and_b64 exec, exec, vcc
	s_cbranch_execz .LBB12_776
; %bb.774:                              ;   in Loop: Header=BB12_79 Depth=1
	s_trap 2
	ds_read_b64 v[10:11], v0
	v_add_u32_e32 v12, v1, v22
	v_ashrrev_i32_e32 v13, 31, v12
	s_mov_b64 s[62:63], 0
.LBB12_775:                             ;   Parent Loop BB12_79 Depth=1
                                        ; =>  This Inner Loop Header: Depth=2
	s_waitcnt lgkmcnt(0)
	v_lshl_add_u64 v[2:3], v[10:11], 0, v[12:13]
	flat_load_ubyte v1, v[2:3] nt
	v_sub_u32_e32 v0, v0, v45
	v_cmp_gt_i32_e32 vcc, 1, v0
	v_lshl_add_u64 v[12:13], v[12:13], 0, v[50:51]
	s_or_b64 s[62:63], vcc, s[62:63]
	s_waitcnt vmcnt(0) lgkmcnt(0)
	flat_store_byte v[2:3], v1 nt
	s_andn2_b64 exec, exec, s[62:63]
	s_cbranch_execnz .LBB12_775
.LBB12_776:                             ;   in Loop: Header=BB12_79 Depth=1
	s_or_b64 exec, exec, s[28:29]
	v_cmp_lt_i32_e64 s[28:29], 0, v30
	s_and_saveexec_b64 s[62:63], s[10:11]
	s_cbranch_execnz .LBB12_783
.LBB12_777:                             ;   in Loop: Header=BB12_79 Depth=1
	s_or_b64 exec, exec, s[62:63]
                                        ; implicit-def: $vgpr0
	s_and_saveexec_b64 vcc, s[24:25]
	s_xor_b64 s[62:63], exec, vcc
	s_cbranch_execz .LBB12_820
.LBB12_778:                             ;   in Loop: Header=BB12_79 Depth=1
	v_and_b32_e32 v1, 16, v62
	v_cmp_ne_u32_e32 vcc, 0, v1
	v_and_b32_e32 v0, 16, v62
	s_and_b64 vcc, vcc, s[28:29]
	s_and_saveexec_b64 s[28:29], vcc
	s_cbranch_execz .LBB12_780
; %bb.779:                              ;   in Loop: Header=BB12_79 Depth=1
	v_mov_b32_e32 v0, 1
	buffer_wbl2 sc1
	s_waitcnt vmcnt(0) lgkmcnt(0)
	buffer_inv sc1
.LBB12_780:                             ;   in Loop: Header=BB12_79 Depth=1
	s_or_b64 exec, exec, s[28:29]
	s_andn2_saveexec_b64 s[28:29], s[62:63]
	s_cbranch_execnz .LBB12_821
.LBB12_781:                             ;   in Loop: Header=BB12_79 Depth=1
	s_or_b64 exec, exec, s[28:29]
	v_cmp_ne_u32_e32 vcc, 0, v0
	s_and_saveexec_b64 s[28:29], vcc
	s_cbranch_execnz .LBB12_888
	s_branch .LBB12_891
.LBB12_782:                             ;   in Loop: Header=BB12_79 Depth=1
	s_and_saveexec_b64 s[62:63], s[10:11]
	s_cbranch_execz .LBB12_777
.LBB12_783:                             ;   in Loop: Header=BB12_79 Depth=1
	s_and_saveexec_b64 vcc, s[46:47]
	s_xor_b64 s[64:65], exec, vcc
	s_cbranch_execz .LBB12_817
; %bb.784:                              ;   in Loop: Header=BB12_79 Depth=1
	s_and_saveexec_b64 s[66:67], s[16:17]
	s_cbranch_execz .LBB12_816
; %bb.785:                              ;   in Loop: Header=BB12_79 Depth=1
	s_mov_b64 s[70:71], exec
	v_mbcnt_lo_u32_b32 v0, s70, 0
	v_mbcnt_hi_u32_b32 v0, s71, v0
	v_cmp_eq_u32_e32 vcc, 0, v0
	s_waitcnt lgkmcnt(0)
	s_and_saveexec_b64 s[68:69], vcc
	s_cbranch_execz .LBB12_787
; %bb.786:                              ;   in Loop: Header=BB12_79 Depth=1
	s_bcnt1_i32_b64 vcc_lo, s[70:71]
	v_mov_b32_e32 v56, vcc_lo
	ds_add_u64 v0, v[56:57]
	s_trap 2
.LBB12_787:                             ;   in Loop: Header=BB12_79 Depth=1
	s_or_b64 exec, exec, s[68:69]
	s_trap 2
	ds_read_b64 v[0:1], v0
	v_lshl_add_u64 v[58:59], v[58:59], 0, v[34:35]
	s_waitcnt lgkmcnt(0)
	v_cmp_lt_u64_e32 vcc, v[0:1], v[58:59]
	s_and_saveexec_b64 s[68:69], vcc
	s_cbranch_execz .LBB12_815
; %bb.788:                              ;   in Loop: Header=BB12_79 Depth=1
	s_mov_b32 s85, 0
	s_mov_b64 s[70:71], 0
                                        ; implicit-def: $sgpr72_sgpr73
                                        ; implicit-def: $sgpr74_sgpr75
	s_branch .LBB12_790
.LBB12_789:                             ;   in Loop: Header=BB12_790 Depth=2
	s_or_b64 exec, exec, s[78:79]
	s_and_b64 vcc, exec, vcc
	s_or_b64 s[70:71], vcc, s[70:71]
	s_andn2_b64 vcc, s[72:73], exec
	s_and_b64 s[72:73], s[74:75], exec
	s_or_b64 s[72:73], vcc, s[72:73]
	s_andn2_b64 exec, exec, s[70:71]
	s_cbranch_execz .LBB12_813
.LBB12_790:                             ;   Parent Loop BB12_79 Depth=1
                                        ; =>  This Inner Loop Header: Depth=2
	s_add_i32 s85, s85, 1
	s_cmpk_lg_i32 s85, 0x2710
	s_cselect_b64 s[76:77], -1, 0
	s_and_b64 vcc, exec, s[76:77]
                                        ; implicit-def: $sgpr78_sgpr79
	s_cbranch_vccnz .LBB12_792
; %bb.791:                              ;   in Loop: Header=BB12_790 Depth=2
	s_trap 2
	ds_read_b64 v[0:1], v0
	s_andn2_b64 s[76:77], s[76:77], exec
	s_mov_b32 s85, 0
	s_mov_b64 s[78:79], -1
	s_waitcnt vmcnt(0) lgkmcnt(0)
	flat_load_dword v0, v[0:1] sc0 sc1
	s_waitcnt vmcnt(0) lgkmcnt(0)
	buffer_inv sc0 sc1
	v_cmp_eq_u32_e32 vcc, 0, v0
	s_and_b64 vcc, vcc, exec
	s_or_b64 s[76:77], s[76:77], vcc
.LBB12_792:                             ;   in Loop: Header=BB12_790 Depth=2
	s_andn2_b64 s[74:75], s[74:75], exec
	s_and_b64 s[78:79], s[78:79], exec
	s_mov_b64 vcc, -1
	s_or_b64 s[74:75], s[74:75], s[78:79]
	s_and_saveexec_b64 s[78:79], s[76:77]
	s_cbranch_execz .LBB12_789
; %bb.793:                              ;   in Loop: Header=BB12_790 Depth=2
	s_sleep 1
	s_trap 2
	ds_read_b64 v[0:1], v0
	s_andn2_b64 s[74:75], s[74:75], exec
	s_waitcnt lgkmcnt(0)
	v_cmp_ge_u64_e32 vcc, v[0:1], v[58:59]
	s_orn2_b64 vcc, vcc, exec
	s_branch .LBB12_789
.LBB12_794:                             ;   in Loop: Header=BB12_79 Depth=1
	s_or_b64 exec, exec, s[68:69]
	s_and_saveexec_b64 vcc, s[70:71]
	s_xor_b64 vcc, exec, vcc
	s_cbranch_execz .LBB12_796
; %bb.795:                              ;   in Loop: Header=BB12_79 Depth=1
	ds_write_b32 v0, v39
	s_trap 2
.LBB12_796:                             ;   in Loop: Header=BB12_79 Depth=1
	s_or_b64 exec, exec, s[66:67]
	;;#ASMSTART
	s_wakeup
	;;#ASMEND
.LBB12_797:                             ;   in Loop: Header=BB12_79 Depth=1
	s_or_b64 exec, exec, s[64:65]
.LBB12_798:                             ;   in Loop: Header=BB12_79 Depth=1
	s_andn2_saveexec_b64 vcc, s[62:63]
	s_cbranch_execz .LBB12_800
; %bb.799:                              ;   in Loop: Header=BB12_79 Depth=1
	s_waitcnt lgkmcnt(0)
	s_barrier
.LBB12_800:                             ;   in Loop: Header=BB12_79 Depth=1
	s_or_b64 exec, exec, vcc
	s_or_b64 exec, exec, s[60:61]
	s_and_saveexec_b64 vcc, s[24:25]
	s_xor_b64 s[60:61], exec, vcc
	s_cbranch_execnz .LBB12_726
.LBB12_801:                             ;   in Loop: Header=BB12_79 Depth=1
	s_andn2_saveexec_b64 s[30:31], s[60:61]
	s_cbranch_execz .LBB12_839
.LBB12_802:                             ;   in Loop: Header=BB12_79 Depth=1
	s_and_saveexec_b64 vcc, s[46:47]
	s_xor_b64 s[60:61], exec, vcc
	s_cbranch_execz .LBB12_836
; %bb.803:                              ;   in Loop: Header=BB12_79 Depth=1
	s_and_saveexec_b64 s[62:63], s[16:17]
	s_cbranch_execz .LBB12_835
; %bb.804:                              ;   in Loop: Header=BB12_79 Depth=1
	s_mov_b64 s[66:67], exec
	v_mbcnt_lo_u32_b32 v0, s66, 0
	v_mbcnt_hi_u32_b32 v0, s67, v0
	v_cmp_eq_u32_e32 vcc, 0, v0
	;;#ASMSTART
	s_waitcnt lgkmcnt(0) vmcnt(0)
	;;#ASMEND
	s_and_saveexec_b64 s[64:65], vcc
	s_cbranch_execz .LBB12_806
; %bb.805:                              ;   in Loop: Header=BB12_79 Depth=1
	s_bcnt1_i32_b64 vcc_lo, s[66:67]
	v_mov_b32_e32 v56, vcc_lo
	ds_add_u64 v0, v[56:57]
	s_trap 2
.LBB12_806:                             ;   in Loop: Header=BB12_79 Depth=1
	s_or_b64 exec, exec, s[64:65]
	s_trap 2
	ds_read_b64 v[0:1], v0
	v_lshl_add_u64 v[58:59], v[58:59], 0, v[34:35]
	s_waitcnt lgkmcnt(0)
	v_cmp_lt_u64_e32 vcc, v[0:1], v[58:59]
	s_and_saveexec_b64 s[64:65], vcc
	s_cbranch_execz .LBB12_834
; %bb.807:                              ;   in Loop: Header=BB12_79 Depth=1
	s_mov_b32 s76, 0
	s_mov_b64 s[66:67], 0
                                        ; implicit-def: $sgpr68_sgpr69
                                        ; implicit-def: $sgpr70_sgpr71
	s_branch .LBB12_809
.LBB12_808:                             ;   in Loop: Header=BB12_809 Depth=2
	s_or_b64 exec, exec, s[74:75]
	s_and_b64 vcc, exec, vcc
	s_or_b64 s[66:67], vcc, s[66:67]
	s_andn2_b64 vcc, s[68:69], exec
	s_and_b64 s[68:69], s[70:71], exec
	s_or_b64 s[68:69], vcc, s[68:69]
	s_andn2_b64 exec, exec, s[66:67]
	s_cbranch_execz .LBB12_832
.LBB12_809:                             ;   Parent Loop BB12_79 Depth=1
                                        ; =>  This Inner Loop Header: Depth=2
	s_add_i32 s76, s76, 1
	s_cmpk_lg_i32 s76, 0x2710
	s_cselect_b64 s[72:73], -1, 0
	s_and_b64 vcc, exec, s[72:73]
                                        ; implicit-def: $sgpr74_sgpr75
	s_cbranch_vccnz .LBB12_811
; %bb.810:                              ;   in Loop: Header=BB12_809 Depth=2
	s_trap 2
	ds_read_b64 v[0:1], v0
	s_andn2_b64 s[72:73], s[72:73], exec
	s_mov_b32 s76, 0
	s_mov_b64 s[74:75], -1
	s_waitcnt vmcnt(0) lgkmcnt(0)
	flat_load_dword v0, v[0:1] sc0 sc1
	s_waitcnt vmcnt(0) lgkmcnt(0)
	buffer_inv sc0 sc1
	v_cmp_eq_u32_e32 vcc, 0, v0
	s_and_b64 vcc, vcc, exec
	s_or_b64 s[72:73], s[72:73], vcc
.LBB12_811:                             ;   in Loop: Header=BB12_809 Depth=2
	s_andn2_b64 s[70:71], s[70:71], exec
	s_and_b64 s[74:75], s[74:75], exec
	s_mov_b64 vcc, -1
	s_or_b64 s[70:71], s[70:71], s[74:75]
	s_and_saveexec_b64 s[74:75], s[72:73]
	s_cbranch_execz .LBB12_808
; %bb.812:                              ;   in Loop: Header=BB12_809 Depth=2
	s_sleep 1
	s_trap 2
	ds_read_b64 v[0:1], v0
	s_andn2_b64 s[70:71], s[70:71], exec
	s_waitcnt lgkmcnt(0)
	v_cmp_ge_u64_e32 vcc, v[0:1], v[58:59]
	s_orn2_b64 vcc, vcc, exec
	s_branch .LBB12_808
.LBB12_813:                             ;   in Loop: Header=BB12_79 Depth=1
	s_or_b64 exec, exec, s[70:71]
	s_and_saveexec_b64 vcc, s[72:73]
	s_xor_b64 vcc, exec, vcc
	s_cbranch_execz .LBB12_815
; %bb.814:                              ;   in Loop: Header=BB12_79 Depth=1
	ds_write_b32 v0, v39
	s_trap 2
.LBB12_815:                             ;   in Loop: Header=BB12_79 Depth=1
	s_or_b64 exec, exec, s[68:69]
	;;#ASMSTART
	s_wakeup
	;;#ASMEND
.LBB12_816:                             ;   in Loop: Header=BB12_79 Depth=1
	s_or_b64 exec, exec, s[66:67]
.LBB12_817:                             ;   in Loop: Header=BB12_79 Depth=1
	s_andn2_saveexec_b64 vcc, s[64:65]
	s_cbranch_execz .LBB12_819
; %bb.818:                              ;   in Loop: Header=BB12_79 Depth=1
	s_waitcnt lgkmcnt(0)
	s_barrier
.LBB12_819:                             ;   in Loop: Header=BB12_79 Depth=1
	s_or_b64 exec, exec, vcc
	s_or_b64 exec, exec, s[62:63]
                                        ; implicit-def: $vgpr0
	s_and_saveexec_b64 vcc, s[24:25]
	s_xor_b64 s[62:63], exec, vcc
	s_cbranch_execnz .LBB12_778
.LBB12_820:                             ;   in Loop: Header=BB12_79 Depth=1
	s_andn2_saveexec_b64 s[28:29], s[62:63]
	s_cbranch_execz .LBB12_781
.LBB12_821:                             ;   in Loop: Header=BB12_79 Depth=1
	s_and_saveexec_b64 vcc, s[46:47]
	s_xor_b64 s[62:63], exec, vcc
	s_cbranch_execz .LBB12_885
; %bb.822:                              ;   in Loop: Header=BB12_79 Depth=1
	s_and_saveexec_b64 s[64:65], s[16:17]
	s_cbranch_execz .LBB12_884
; %bb.823:                              ;   in Loop: Header=BB12_79 Depth=1
	s_mov_b64 s[68:69], exec
	v_mbcnt_lo_u32_b32 v0, s68, 0
	v_mbcnt_hi_u32_b32 v0, s69, v0
	v_cmp_eq_u32_e32 vcc, 0, v0
	;;#ASMSTART
	s_waitcnt lgkmcnt(0) vmcnt(0)
	;;#ASMEND
	s_and_saveexec_b64 s[66:67], vcc
	s_cbranch_execz .LBB12_825
; %bb.824:                              ;   in Loop: Header=BB12_79 Depth=1
	s_bcnt1_i32_b64 vcc_lo, s[68:69]
	v_mov_b32_e32 v56, vcc_lo
	ds_add_u64 v0, v[56:57]
	s_trap 2
.LBB12_825:                             ;   in Loop: Header=BB12_79 Depth=1
	s_or_b64 exec, exec, s[66:67]
	s_trap 2
	ds_read_b64 v[0:1], v0
	v_lshl_add_u64 v[58:59], v[58:59], 0, v[34:35]
	s_waitcnt lgkmcnt(0)
	v_cmp_lt_u64_e32 vcc, v[0:1], v[58:59]
	s_and_saveexec_b64 s[66:67], vcc
	s_cbranch_execz .LBB12_883
; %bb.826:                              ;   in Loop: Header=BB12_79 Depth=1
	s_mov_b32 s78, 0
	s_mov_b64 s[68:69], 0
                                        ; implicit-def: $sgpr70_sgpr71
                                        ; implicit-def: $sgpr72_sgpr73
	s_branch .LBB12_828
.LBB12_827:                             ;   in Loop: Header=BB12_828 Depth=2
	s_or_b64 exec, exec, s[76:77]
	s_and_b64 vcc, exec, vcc
	s_or_b64 s[68:69], vcc, s[68:69]
	s_andn2_b64 vcc, s[70:71], exec
	s_and_b64 s[70:71], s[72:73], exec
	s_or_b64 s[70:71], vcc, s[70:71]
	s_andn2_b64 exec, exec, s[68:69]
	s_cbranch_execz .LBB12_881
.LBB12_828:                             ;   Parent Loop BB12_79 Depth=1
                                        ; =>  This Inner Loop Header: Depth=2
	s_add_i32 s78, s78, 1
	s_cmpk_lg_i32 s78, 0x2710
	s_cselect_b64 s[74:75], -1, 0
	s_and_b64 vcc, exec, s[74:75]
                                        ; implicit-def: $sgpr76_sgpr77
	s_cbranch_vccnz .LBB12_830
; %bb.829:                              ;   in Loop: Header=BB12_828 Depth=2
	s_trap 2
	ds_read_b64 v[0:1], v0
	s_andn2_b64 s[74:75], s[74:75], exec
	s_mov_b32 s78, 0
	s_mov_b64 s[76:77], -1
	s_waitcnt vmcnt(0) lgkmcnt(0)
	flat_load_dword v0, v[0:1] sc0 sc1
	s_waitcnt vmcnt(0) lgkmcnt(0)
	buffer_inv sc0 sc1
	v_cmp_eq_u32_e32 vcc, 0, v0
	s_and_b64 vcc, vcc, exec
	s_or_b64 s[74:75], s[74:75], vcc
.LBB12_830:                             ;   in Loop: Header=BB12_828 Depth=2
	s_andn2_b64 s[72:73], s[72:73], exec
	s_and_b64 s[76:77], s[76:77], exec
	s_mov_b64 vcc, -1
	s_or_b64 s[72:73], s[72:73], s[76:77]
	s_and_saveexec_b64 s[76:77], s[74:75]
	s_cbranch_execz .LBB12_827
; %bb.831:                              ;   in Loop: Header=BB12_828 Depth=2
	s_sleep 1
	s_trap 2
	ds_read_b64 v[0:1], v0
	s_andn2_b64 s[72:73], s[72:73], exec
	s_waitcnt lgkmcnt(0)
	v_cmp_ge_u64_e32 vcc, v[0:1], v[58:59]
	s_orn2_b64 vcc, vcc, exec
	s_branch .LBB12_827
.LBB12_832:                             ;   in Loop: Header=BB12_79 Depth=1
	s_or_b64 exec, exec, s[66:67]
	s_and_saveexec_b64 vcc, s[68:69]
	s_xor_b64 vcc, exec, vcc
	s_cbranch_execz .LBB12_834
; %bb.833:                              ;   in Loop: Header=BB12_79 Depth=1
	ds_write_b32 v0, v39
	s_trap 2
.LBB12_834:                             ;   in Loop: Header=BB12_79 Depth=1
	s_or_b64 exec, exec, s[64:65]
	;;#ASMSTART
	s_wakeup
	;;#ASMEND
.LBB12_835:                             ;   in Loop: Header=BB12_79 Depth=1
	s_or_b64 exec, exec, s[62:63]
.LBB12_836:                             ;   in Loop: Header=BB12_79 Depth=1
	s_andn2_saveexec_b64 vcc, s[60:61]
	s_cbranch_execz .LBB12_838
; %bb.837:                              ;   in Loop: Header=BB12_79 Depth=1
	;;#ASMSTART
	s_waitcnt lgkmcnt(0) vmcnt(0)
	;;#ASMEND
	s_barrier
.LBB12_838:                             ;   in Loop: Header=BB12_79 Depth=1
	s_or_b64 exec, exec, vcc
.LBB12_839:                             ;   in Loop: Header=BB12_79 Depth=1
	s_or_b64 exec, exec, s[30:31]
	v_and_b32_e32 v0, 32, v62
	v_cmp_ne_u32_e32 vcc, 0, v0
	s_and_saveexec_b64 s[30:31], vcc
	s_cbranch_execz .LBB12_841
; %bb.840:                              ;   in Loop: Header=BB12_79 Depth=1
	v_lshl_add_u64 v[8:9], v[8:9], 0, 1
	flat_store_dwordx2 v[20:21], v[8:9] sc0 sc1
.LBB12_841:                             ;   in Loop: Header=BB12_79 Depth=1
	s_or_b64 exec, exec, s[30:31]
	v_mov_b32_e32 v16, v60
.LBB12_842:                             ;   in Loop: Header=BB12_79 Depth=1
	s_or_b64 exec, exec, s[56:57]
	s_mov_b64 vcc, s[34:35]
	s_and_saveexec_b64 s[56:57], s[26:27]
	s_cbranch_execz .LBB12_991
; %bb.843:                              ;   in Loop: Header=BB12_79 Depth=1
	v_and_b32_e32 v0, 4, v62
	v_cmp_ne_u32_e32 vcc, 0, v0
	s_mov_b64 s[60:61], -1
	s_and_saveexec_b64 s[30:31], vcc
	s_cbranch_execz .LBB12_853
; %bb.844:                              ;   in Loop: Header=BB12_79 Depth=1
	v_lshl_add_u64 v[10:11], v[8:9], 0, 1
	v_cmp_lt_u64_e32 vcc, v[32:33], v[10:11]
	v_mov_b32_e32 v0, 1
	s_and_saveexec_b64 s[60:61], vcc
	s_cbranch_execz .LBB12_868
; %bb.845:                              ;   in Loop: Header=BB12_79 Depth=1
	s_mov_b64 s[62:63], 0
	v_mov_b32_e32 v0, 0
                                        ; implicit-def: $sgpr64_sgpr65
	s_branch .LBB12_849
.LBB12_846:                             ;   in Loop: Header=BB12_849 Depth=2
	s_or_b64 exec, exec, s[72:73]
	v_mov_b32_e32 v1, 0
	s_orn2_b64 s[70:71], s[70:71], exec
.LBB12_847:                             ;   in Loop: Header=BB12_849 Depth=2
	s_or_b64 exec, exec, s[68:69]
	s_andn2_b64 vcc, s[64:65], exec
	s_and_b64 s[64:65], s[70:71], exec
	s_or_b64 s[64:65], vcc, s[64:65]
	v_mov_b32_e32 v0, v1
.LBB12_848:                             ;   in Loop: Header=BB12_849 Depth=2
	s_or_b64 exec, exec, s[66:67]
	s_waitcnt vmcnt(0) lgkmcnt(0)
	v_cmp_ge_u64_e32 vcc, v[32:33], v[10:11]
	s_xor_b64 s[66:67], s[64:65], -1
	s_or_b64 vcc, s[66:67], vcc
	s_and_b64 vcc, exec, vcc
	s_or_b64 s[62:63], vcc, s[62:63]
	s_andn2_b64 exec, exec, s[62:63]
	s_cbranch_execz .LBB12_867
.LBB12_849:                             ;   Parent Loop BB12_79 Depth=1
                                        ; =>  This Inner Loop Header: Depth=2
	s_sleep 1
	flat_load_dwordx2 v[32:33], v[20:21] sc0 sc1
	v_and_b32_e32 v1, 64, v62
	v_cmp_eq_u32_e32 vcc, 0, v1
	s_andn2_b64 s[64:65], s[64:65], exec
	s_and_saveexec_b64 s[66:67], vcc
	s_cbranch_execz .LBB12_848
; %bb.850:                              ;   in Loop: Header=BB12_849 Depth=2
	v_add_u32_e32 v1, 1, v0
	v_cmp_lt_i32_e32 vcc, s82, v0
	s_mov_b64 s[70:71], -1
	s_and_saveexec_b64 s[68:69], vcc
	s_cbranch_execz .LBB12_847
; %bb.851:                              ;   in Loop: Header=BB12_849 Depth=2
	s_trap 2
	ds_read_b64 v[0:1], v0
	s_waitcnt vmcnt(0) lgkmcnt(0)
	flat_load_dword v0, v[0:1] sc0 sc1
	s_waitcnt vmcnt(0) lgkmcnt(0)
	buffer_inv sc0 sc1
	v_cmp_ne_u32_e32 vcc, 0, v0
	s_and_saveexec_b64 s[72:73], vcc
	s_cbranch_execz .LBB12_846
; %bb.852:                              ;   in Loop: Header=BB12_849 Depth=2
	v_or_b32_e32 v62, 64, v62
	s_xor_b64 s[70:71], exec, -1
	ds_write_b32 v0, v0
	s_trap 2
	s_branch .LBB12_846
.LBB12_853:                             ;   in Loop: Header=BB12_79 Depth=1
	s_or_b64 exec, exec, s[30:31]
	s_xor_b64 vcc, s[60:61], -1
	s_and_saveexec_b64 s[60:61], vcc
	s_cbranch_execz .LBB12_869
.LBB12_854:                             ;   in Loop: Header=BB12_79 Depth=1
	v_and_b32_e32 v0, 0x100, v62
	v_cmp_ne_u32_e32 vcc, 0, v0
	v_and_b32_e32 v0, 7, v8
	s_mov_b64 s[30:31], -1
                                        ; implicit-def: $vgpr10_vgpr11
	s_and_saveexec_b64 s[62:63], vcc
	s_cbranch_execz .LBB12_858
; %bb.855:                              ;   in Loop: Header=BB12_79 Depth=1
	v_mad_u64_u32 v[12:13], vcc, v0, 24, v[6:7]
	flat_load_dword v1, v[12:13]
                                        ; implicit-def: $vgpr10_vgpr11
	s_waitcnt vmcnt(0) lgkmcnt(0)
	v_cmp_ne_u32_e32 vcc, 1, v1
	v_cmp_eq_u32_e64 s[30:31], 1, v1
	s_and_saveexec_b64 s[64:65], s[30:31]
	s_cbranch_execz .LBB12_857
; %bb.856:                              ;   in Loop: Header=BB12_79 Depth=1
	flat_load_dword v10, v[12:13] offset:4 sc0 sc1
	s_waitcnt vmcnt(0) lgkmcnt(0)
	v_ashrrev_i32_e32 v11, 31, v10
.LBB12_857:                             ;   in Loop: Header=BB12_79 Depth=1
	s_or_b64 exec, exec, s[64:65]
	s_orn2_b64 s[30:31], vcc, exec
.LBB12_858:                             ;   in Loop: Header=BB12_79 Depth=1
	s_or_b64 exec, exec, s[62:63]
	s_and_saveexec_b64 vcc, s[30:31]
; %bb.859:                              ;   in Loop: Header=BB12_79 Depth=1
	v_mad_i64_i32 v[10:11], s[30:31], v0, v38, 0
; %bb.860:                              ;   in Loop: Header=BB12_79 Depth=1
	s_or_b64 exec, exec, vcc
	v_lshl_add_u64 v[0:1], v[54:55], 0, v[10:11]
	ds_write_b64 v0, v[0:1] offset:720
	v_and_b32_e32 v0, 0x2000, v62
	v_cmp_ne_u32_e32 vcc, 0, v0
	s_and_saveexec_b64 s[30:31], vcc
	s_cbranch_execz .LBB12_862
; %bb.861:                              ;   in Loop: Header=BB12_79 Depth=1
	ds_read_b64 v[0:1], v0 offset:584
	s_waitcnt lgkmcnt(0)
	v_lshl_add_u64 v[0:1], v[0:1], 0, 1
	ds_write_b64 v0, v[0:1] offset:584
.LBB12_862:                             ;   in Loop: Header=BB12_79 Depth=1
	s_or_b64 exec, exec, s[30:31]
	v_lshl_add_u64 v[8:9], v[8:9], 0, 1
	s_or_b64 exec, exec, s[60:61]
	s_and_saveexec_b64 s[30:31], s[10:11]
	s_cbranch_execnz .LBB12_870
.LBB12_863:                             ;   in Loop: Header=BB12_79 Depth=1
	s_or_b64 exec, exec, s[30:31]
	s_and_saveexec_b64 vcc, s[24:25]
	s_xor_b64 s[30:31], exec, vcc
	s_cbranch_execz .LBB12_946
.LBB12_864:                             ;   in Loop: Header=BB12_79 Depth=1
	s_trap 2
	ds_read_b32 v0, v0
	v_sub_u32_e32 v1, v31, v16
	v_min_i32_e32 v1, v60, v1
	v_cmp_lt_i32_e32 vcc, 0, v1
	s_waitcnt lgkmcnt(0)
	v_readfirstlane_b32 s60, v0
	s_cmp_eq_u32 s60, 0
	s_cselect_b64 s[60:61], -1, 0
	v_and_b32_e32 v0, 16, v62
	s_and_b64 s[60:61], vcc, s[60:61]
	v_cmp_ne_u32_e32 vcc, 0, v0
	s_and_b64 s[60:61], vcc, s[60:61]
	s_and_saveexec_b64 vcc, s[60:61]
	s_cbranch_execz .LBB12_866
; %bb.865:                              ;   in Loop: Header=BB12_79 Depth=1
	buffer_wbl2 sc1
	s_waitcnt vmcnt(0)
	buffer_inv sc1
.LBB12_866:                             ;   in Loop: Header=BB12_79 Depth=1
	s_or_b64 exec, exec, vcc
	s_andn2_saveexec_b64 s[30:31], s[30:31]
	s_cbranch_execz .LBB12_990
	s_branch .LBB12_947
.LBB12_867:                             ;   in Loop: Header=BB12_79 Depth=1
	s_or_b64 exec, exec, s[62:63]
	v_and_b32_e32 v0, 4, v62
.LBB12_868:                             ;   in Loop: Header=BB12_79 Depth=1
	s_or_b64 exec, exec, s[60:61]
	v_cmp_eq_u32_e32 vcc, 0, v0
	s_orn2_b64 s[60:61], vcc, exec
	;;#ASMSTART
	s_wakeup
	;;#ASMEND
	s_or_b64 exec, exec, s[30:31]
	s_xor_b64 vcc, s[60:61], -1
	s_and_saveexec_b64 s[60:61], vcc
	s_cbranch_execnz .LBB12_854
.LBB12_869:                             ;   in Loop: Header=BB12_79 Depth=1
	s_or_b64 exec, exec, s[60:61]
	s_and_saveexec_b64 s[30:31], s[10:11]
	s_cbranch_execz .LBB12_863
.LBB12_870:                             ;   in Loop: Header=BB12_79 Depth=1
	s_and_saveexec_b64 vcc, s[46:47]
	s_xor_b64 s[60:61], exec, vcc
	s_cbranch_execz .LBB12_943
; %bb.871:                              ;   in Loop: Header=BB12_79 Depth=1
	s_and_saveexec_b64 s[62:63], s[16:17]
	s_cbranch_execz .LBB12_942
; %bb.872:                              ;   in Loop: Header=BB12_79 Depth=1
	s_mov_b64 s[66:67], exec
	v_mbcnt_lo_u32_b32 v0, s66, 0
	v_mbcnt_hi_u32_b32 v0, s67, v0
	v_cmp_eq_u32_e32 vcc, 0, v0
	s_waitcnt lgkmcnt(0)
	s_and_saveexec_b64 s[64:65], vcc
	s_cbranch_execz .LBB12_874
; %bb.873:                              ;   in Loop: Header=BB12_79 Depth=1
	s_bcnt1_i32_b64 vcc_lo, s[66:67]
	v_mov_b32_e32 v56, vcc_lo
	ds_add_u64 v0, v[56:57]
	s_trap 2
.LBB12_874:                             ;   in Loop: Header=BB12_79 Depth=1
	s_or_b64 exec, exec, s[64:65]
	s_trap 2
	ds_read_b64 v[0:1], v0
	v_lshl_add_u64 v[58:59], v[58:59], 0, v[34:35]
	s_waitcnt lgkmcnt(0)
	v_cmp_lt_u64_e32 vcc, v[0:1], v[58:59]
	s_and_saveexec_b64 s[64:65], vcc
	s_cbranch_execz .LBB12_941
; %bb.875:                              ;   in Loop: Header=BB12_79 Depth=1
	s_mov_b32 s76, 0
	s_mov_b64 s[66:67], 0
                                        ; implicit-def: $sgpr68_sgpr69
                                        ; implicit-def: $sgpr70_sgpr71
	s_branch .LBB12_877
.LBB12_876:                             ;   in Loop: Header=BB12_877 Depth=2
	s_or_b64 exec, exec, s[74:75]
	s_and_b64 vcc, exec, vcc
	s_or_b64 s[66:67], vcc, s[66:67]
	s_andn2_b64 vcc, s[68:69], exec
	s_and_b64 s[68:69], s[70:71], exec
	s_or_b64 s[68:69], vcc, s[68:69]
	s_andn2_b64 exec, exec, s[66:67]
	s_cbranch_execz .LBB12_939
.LBB12_877:                             ;   Parent Loop BB12_79 Depth=1
                                        ; =>  This Inner Loop Header: Depth=2
	s_add_i32 s76, s76, 1
	s_cmpk_lg_i32 s76, 0x2710
	s_cselect_b64 s[72:73], -1, 0
	s_and_b64 vcc, exec, s[72:73]
                                        ; implicit-def: $sgpr74_sgpr75
	s_cbranch_vccnz .LBB12_879
; %bb.878:                              ;   in Loop: Header=BB12_877 Depth=2
	s_trap 2
	ds_read_b64 v[0:1], v0
	s_andn2_b64 s[72:73], s[72:73], exec
	s_mov_b32 s76, 0
	s_mov_b64 s[74:75], -1
	s_waitcnt vmcnt(0) lgkmcnt(0)
	flat_load_dword v0, v[0:1] sc0 sc1
	s_waitcnt vmcnt(0) lgkmcnt(0)
	buffer_inv sc0 sc1
	v_cmp_eq_u32_e32 vcc, 0, v0
	s_and_b64 vcc, vcc, exec
	s_or_b64 s[72:73], s[72:73], vcc
.LBB12_879:                             ;   in Loop: Header=BB12_877 Depth=2
	s_andn2_b64 s[70:71], s[70:71], exec
	s_and_b64 s[74:75], s[74:75], exec
	s_mov_b64 vcc, -1
	s_or_b64 s[70:71], s[70:71], s[74:75]
	s_and_saveexec_b64 s[74:75], s[72:73]
	s_cbranch_execz .LBB12_876
; %bb.880:                              ;   in Loop: Header=BB12_877 Depth=2
	s_sleep 1
	s_trap 2
	ds_read_b64 v[0:1], v0
	s_andn2_b64 s[70:71], s[70:71], exec
	s_waitcnt lgkmcnt(0)
	v_cmp_ge_u64_e32 vcc, v[0:1], v[58:59]
	s_orn2_b64 vcc, vcc, exec
	s_branch .LBB12_876
.LBB12_881:                             ;   in Loop: Header=BB12_79 Depth=1
	s_or_b64 exec, exec, s[68:69]
	s_and_saveexec_b64 vcc, s[70:71]
	s_xor_b64 vcc, exec, vcc
	s_cbranch_execz .LBB12_883
; %bb.882:                              ;   in Loop: Header=BB12_79 Depth=1
	ds_write_b32 v0, v39
	s_trap 2
.LBB12_883:                             ;   in Loop: Header=BB12_79 Depth=1
	s_or_b64 exec, exec, s[66:67]
	;;#ASMSTART
	s_wakeup
	;;#ASMEND
.LBB12_884:                             ;   in Loop: Header=BB12_79 Depth=1
	s_or_b64 exec, exec, s[64:65]
.LBB12_885:                             ;   in Loop: Header=BB12_79 Depth=1
	s_andn2_saveexec_b64 vcc, s[62:63]
	s_cbranch_execz .LBB12_887
; %bb.886:                              ;   in Loop: Header=BB12_79 Depth=1
	;;#ASMSTART
	s_waitcnt lgkmcnt(0) vmcnt(0)
	;;#ASMEND
	s_barrier
.LBB12_887:                             ;   in Loop: Header=BB12_79 Depth=1
	s_or_b64 exec, exec, vcc
	v_and_b32_e32 v0, 16, v62
	s_or_b64 exec, exec, s[28:29]
	v_cmp_ne_u32_e32 vcc, 0, v0
	s_and_saveexec_b64 s[28:29], vcc
	s_cbranch_execz .LBB12_891
.LBB12_888:                             ;   in Loop: Header=BB12_79 Depth=1
	s_and_saveexec_b64 vcc, s[14:15]
	s_cbranch_execz .LBB12_890
; %bb.889:                              ;   in Loop: Header=BB12_79 Depth=1
	flat_store_dword v[42:43], v39 sc0 sc1
.LBB12_890:                             ;   in Loop: Header=BB12_79 Depth=1
	s_or_b64 exec, exec, vcc
	v_lshl_add_u64 v[8:9], v[8:9], 0, 1
	flat_store_dwordx2 v[20:21], v[8:9] sc0 sc1
.LBB12_891:                             ;   in Loop: Header=BB12_79 Depth=1
	s_or_b64 exec, exec, s[28:29]
	v_mov_b32_e32 v1, v60
.LBB12_892:                             ;   in Loop: Header=BB12_79 Depth=1
	s_or_b64 exec, exec, s[60:61]
	s_mov_b64 vcc, s[34:35]
	s_mov_b64 s[60:61], s[30:31]
	s_and_saveexec_b64 s[28:29], s[26:27]
	s_cbranch_execz .LBB12_979
; %bb.893:                              ;   in Loop: Header=BB12_79 Depth=1
	v_and_b32_e32 v0, 8, v62
	v_cmp_ne_u32_e32 vcc, 0, v0
	s_mov_b64 s[60:61], -1
	s_and_saveexec_b64 s[26:27], vcc
	s_cbranch_execz .LBB12_905
; %bb.894:                              ;   in Loop: Header=BB12_79 Depth=1
	v_lshl_add_u64 v[2:3], v[32:33], 0, 8
	v_lshl_add_u64 v[10:11], v[8:9], 0, 1
	v_cmp_lt_u64_e32 vcc, v[2:3], v[10:11]
	v_mov_b32_e32 v0, 1
	s_and_saveexec_b64 s[60:61], vcc
	s_cbranch_execz .LBB12_904
; %bb.895:                              ;   in Loop: Header=BB12_79 Depth=1
	s_mov_b64 s[62:63], 0
	v_mov_b32_e32 v0, 0
                                        ; implicit-def: $sgpr64_sgpr65
	s_branch .LBB12_899
.LBB12_896:                             ;   in Loop: Header=BB12_899 Depth=2
	s_or_b64 exec, exec, s[72:73]
	v_mov_b32_e32 v2, 0
	s_orn2_b64 s[70:71], s[70:71], exec
.LBB12_897:                             ;   in Loop: Header=BB12_899 Depth=2
	s_or_b64 exec, exec, s[68:69]
	s_andn2_b64 vcc, s[64:65], exec
	s_and_b64 s[64:65], s[70:71], exec
	s_or_b64 s[64:65], vcc, s[64:65]
	v_mov_b32_e32 v0, v2
.LBB12_898:                             ;   in Loop: Header=BB12_899 Depth=2
	s_or_b64 exec, exec, s[66:67]
	s_waitcnt vmcnt(0) lgkmcnt(0)
	v_lshl_add_u64 v[2:3], v[32:33], 0, 8
	v_cmp_ge_u64_e32 vcc, v[2:3], v[10:11]
	s_xor_b64 s[66:67], s[64:65], -1
	s_or_b64 vcc, s[66:67], vcc
	s_and_b64 vcc, exec, vcc
	s_or_b64 s[62:63], vcc, s[62:63]
	s_andn2_b64 exec, exec, s[62:63]
	s_cbranch_execz .LBB12_903
.LBB12_899:                             ;   Parent Loop BB12_79 Depth=1
                                        ; =>  This Inner Loop Header: Depth=2
	s_sleep 1
	flat_load_dwordx2 v[32:33], v[20:21] sc0 sc1
	v_and_b32_e32 v2, 64, v62
	v_cmp_eq_u32_e32 vcc, 0, v2
	s_andn2_b64 s[64:65], s[64:65], exec
	s_and_saveexec_b64 s[66:67], vcc
	s_cbranch_execz .LBB12_898
; %bb.900:                              ;   in Loop: Header=BB12_899 Depth=2
	v_add_u32_e32 v2, 1, v0
	v_cmp_lt_i32_e32 vcc, s82, v0
	s_mov_b64 s[70:71], -1
	s_and_saveexec_b64 s[68:69], vcc
	s_cbranch_execz .LBB12_897
; %bb.901:                              ;   in Loop: Header=BB12_899 Depth=2
	s_trap 2
	ds_read_b64 v[2:3], v0
	s_waitcnt vmcnt(0) lgkmcnt(0)
	flat_load_dword v0, v[2:3] sc0 sc1
	s_waitcnt vmcnt(0) lgkmcnt(0)
	buffer_inv sc0 sc1
	v_cmp_ne_u32_e32 vcc, 0, v0
	s_and_saveexec_b64 s[72:73], vcc
	s_cbranch_execz .LBB12_896
; %bb.902:                              ;   in Loop: Header=BB12_899 Depth=2
	v_or_b32_e32 v62, 64, v62
	s_xor_b64 s[70:71], exec, -1
	ds_write_b32 v0, v0
	s_trap 2
	s_branch .LBB12_896
.LBB12_903:                             ;   in Loop: Header=BB12_79 Depth=1
	s_or_b64 exec, exec, s[62:63]
	v_and_b32_e32 v0, 8, v62
.LBB12_904:                             ;   in Loop: Header=BB12_79 Depth=1
	s_or_b64 exec, exec, s[60:61]
	v_cmp_eq_u32_e32 vcc, 0, v0
	s_orn2_b64 s[60:61], vcc, exec
	;;#ASMSTART
	s_wakeup
	;;#ASMEND
.LBB12_905:                             ;   in Loop: Header=BB12_79 Depth=1
	s_or_b64 exec, exec, s[26:27]
	v_sub_u32_e32 v0, v31, v1
	s_xor_b64 s[26:27], s[60:61], -1
	v_min_i32_e32 v10, v60, v0
	s_and_saveexec_b64 s[60:61], s[26:27]
	s_cbranch_execz .LBB12_927
; %bb.906:                              ;   in Loop: Header=BB12_79 Depth=1
	v_and_b32_e32 v0, 0x100, v62
	v_cmp_ne_u32_e32 vcc, 0, v0
	v_and_b32_e32 v0, 7, v8
	s_mov_b64 s[26:27], -1
                                        ; implicit-def: $vgpr12_vgpr13
	s_and_saveexec_b64 s[62:63], vcc
	s_cbranch_execz .LBB12_910
; %bb.907:                              ;   in Loop: Header=BB12_79 Depth=1
	s_waitcnt vmcnt(0)
	v_mad_u64_u32 v[16:17], s[26:27], v0, 24, v[6:7]
	flat_load_dword v1, v[16:17]
	v_ashrrev_i32_e32 v11, 31, v10
	flat_store_dwordx2 v[16:17], v[10:11] offset:8
                                        ; implicit-def: $vgpr12_vgpr13
	s_waitcnt vmcnt(0) lgkmcnt(0)
	v_cmp_ne_u32_e32 vcc, 1, v1
	v_cmp_eq_u32_e64 s[26:27], 1, v1
	s_and_saveexec_b64 s[64:65], s[26:27]
	s_cbranch_execz .LBB12_909
; %bb.908:                              ;   in Loop: Header=BB12_79 Depth=1
	flat_load_dword v12, v[16:17] offset:4 sc0 sc1
	s_waitcnt vmcnt(0) lgkmcnt(0)
	v_ashrrev_i32_e32 v13, 31, v12
.LBB12_909:                             ;   in Loop: Header=BB12_79 Depth=1
	s_or_b64 exec, exec, s[64:65]
	scratch_load_dwordx2 v[16:17], off, s33 offset:136 ; 8-byte Folded Reload
	s_orn2_b64 s[26:27], vcc, exec
.LBB12_910:                             ;   in Loop: Header=BB12_79 Depth=1
	s_or_b64 exec, exec, s[62:63]
	s_and_saveexec_b64 vcc, s[26:27]
; %bb.911:                              ;   in Loop: Header=BB12_79 Depth=1
	v_mad_i64_i32 v[12:13], s[26:27], v0, v38, 0
; %bb.912:                              ;   in Loop: Header=BB12_79 Depth=1
	s_or_b64 exec, exec, vcc
	v_lshl_add_u64 v[0:1], v[54:55], 0, v[12:13]
	ds_write_b64 v0, v[0:1] offset:784
	v_and_b32_e32 v0, 0x2000, v62
	v_cmp_ne_u32_e32 vcc, 0, v0
	s_and_saveexec_b64 s[26:27], vcc
	s_cbranch_execz .LBB12_914
; %bb.913:                              ;   in Loop: Header=BB12_79 Depth=1
	ds_read_b64 v[0:1], v0 offset:584
	s_waitcnt lgkmcnt(0)
	v_lshl_add_u64 v[0:1], v[0:1], 0, 1
	ds_write_b64 v0, v[0:1] offset:584
.LBB12_914:                             ;   in Loop: Header=BB12_79 Depth=1
	s_or_b64 exec, exec, s[26:27]
	v_lshl_add_u64 v[8:9], v[8:9], 0, 1
	s_or_b64 exec, exec, s[60:61]
	s_and_saveexec_b64 s[26:27], s[10:11]
	s_cbranch_execnz .LBB12_928
.LBB12_915:                             ;   in Loop: Header=BB12_79 Depth=1
	s_or_b64 exec, exec, s[26:27]
                                        ; implicit-def: $vgpr0
	s_and_saveexec_b64 s[26:27], s[54:55]
	s_xor_b64 s[26:27], exec, s[26:27]
	s_cbranch_execz .LBB12_972
.LBB12_916:                             ;   in Loop: Header=BB12_79 Depth=1
	s_and_saveexec_b64 vcc, s[46:47]
	s_xor_b64 s[60:61], exec, vcc
	s_cbranch_execz .LBB12_962
; %bb.917:                              ;   in Loop: Header=BB12_79 Depth=1
	s_and_saveexec_b64 s[62:63], s[16:17]
	s_cbranch_execz .LBB12_961
; %bb.918:                              ;   in Loop: Header=BB12_79 Depth=1
	s_mov_b64 s[66:67], exec
	v_mbcnt_lo_u32_b32 v0, s66, 0
	v_mbcnt_hi_u32_b32 v0, s67, v0
	v_cmp_eq_u32_e32 vcc, 0, v0
	;;#ASMSTART
	s_waitcnt lgkmcnt(0) vmcnt(0)
	;;#ASMEND
	s_and_saveexec_b64 s[64:65], vcc
	s_cbranch_execz .LBB12_920
; %bb.919:                              ;   in Loop: Header=BB12_79 Depth=1
	s_bcnt1_i32_b64 vcc_lo, s[66:67]
	v_mov_b32_e32 v56, vcc_lo
	ds_add_u64 v0, v[56:57]
	s_trap 2
.LBB12_920:                             ;   in Loop: Header=BB12_79 Depth=1
	s_or_b64 exec, exec, s[64:65]
	s_trap 2
	ds_read_b64 v[0:1], v0
	v_lshl_add_u64 v[58:59], v[58:59], 0, v[34:35]
	s_waitcnt lgkmcnt(0)
	v_cmp_lt_u64_e32 vcc, v[0:1], v[58:59]
	s_and_saveexec_b64 s[64:65], vcc
	s_cbranch_execz .LBB12_960
; %bb.921:                              ;   in Loop: Header=BB12_79 Depth=1
	s_mov_b32 s76, 0
	s_mov_b64 s[66:67], 0
                                        ; implicit-def: $sgpr68_sgpr69
                                        ; implicit-def: $sgpr70_sgpr71
	s_branch .LBB12_923
.LBB12_922:                             ;   in Loop: Header=BB12_923 Depth=2
	s_or_b64 exec, exec, s[74:75]
	s_and_b64 vcc, exec, vcc
	s_or_b64 s[66:67], vcc, s[66:67]
	s_andn2_b64 vcc, s[68:69], exec
	s_and_b64 s[68:69], s[70:71], exec
	s_or_b64 s[68:69], vcc, s[68:69]
	s_andn2_b64 exec, exec, s[66:67]
	s_cbranch_execz .LBB12_958
.LBB12_923:                             ;   Parent Loop BB12_79 Depth=1
                                        ; =>  This Inner Loop Header: Depth=2
	s_add_i32 s76, s76, 1
	s_cmpk_lg_i32 s76, 0x2710
	s_cselect_b64 s[72:73], -1, 0
	s_and_b64 vcc, exec, s[72:73]
                                        ; implicit-def: $sgpr74_sgpr75
	s_cbranch_vccnz .LBB12_925
; %bb.924:                              ;   in Loop: Header=BB12_923 Depth=2
	s_trap 2
	ds_read_b64 v[0:1], v0
	s_andn2_b64 s[72:73], s[72:73], exec
	s_mov_b32 s76, 0
	s_mov_b64 s[74:75], -1
	s_waitcnt vmcnt(0) lgkmcnt(0)
	flat_load_dword v0, v[0:1] sc0 sc1
	s_waitcnt vmcnt(0) lgkmcnt(0)
	buffer_inv sc0 sc1
	v_cmp_eq_u32_e32 vcc, 0, v0
	s_and_b64 vcc, vcc, exec
	s_or_b64 s[72:73], s[72:73], vcc
.LBB12_925:                             ;   in Loop: Header=BB12_923 Depth=2
	s_andn2_b64 s[70:71], s[70:71], exec
	s_and_b64 s[74:75], s[74:75], exec
	s_mov_b64 vcc, -1
	s_or_b64 s[70:71], s[70:71], s[74:75]
	s_and_saveexec_b64 s[74:75], s[72:73]
	s_cbranch_execz .LBB12_922
; %bb.926:                              ;   in Loop: Header=BB12_923 Depth=2
	s_sleep 1
	s_trap 2
	ds_read_b64 v[0:1], v0
	s_andn2_b64 s[70:71], s[70:71], exec
	s_waitcnt lgkmcnt(0)
	v_cmp_ge_u64_e32 vcc, v[0:1], v[58:59]
	s_orn2_b64 vcc, vcc, exec
	s_branch .LBB12_922
.LBB12_927:                             ;   in Loop: Header=BB12_79 Depth=1
	s_or_b64 exec, exec, s[60:61]
	s_and_saveexec_b64 s[26:27], s[10:11]
	s_cbranch_execz .LBB12_915
.LBB12_928:                             ;   in Loop: Header=BB12_79 Depth=1
	s_and_saveexec_b64 vcc, s[46:47]
	s_xor_b64 s[60:61], exec, vcc
	s_cbranch_execz .LBB12_969
; %bb.929:                              ;   in Loop: Header=BB12_79 Depth=1
	s_and_saveexec_b64 s[62:63], s[16:17]
	s_cbranch_execz .LBB12_968
; %bb.930:                              ;   in Loop: Header=BB12_79 Depth=1
	s_mov_b64 s[66:67], exec
	v_mbcnt_lo_u32_b32 v0, s66, 0
	v_mbcnt_hi_u32_b32 v0, s67, v0
	v_cmp_eq_u32_e32 vcc, 0, v0
	s_waitcnt lgkmcnt(0)
	s_and_saveexec_b64 s[64:65], vcc
	s_cbranch_execz .LBB12_932
; %bb.931:                              ;   in Loop: Header=BB12_79 Depth=1
	s_bcnt1_i32_b64 vcc_lo, s[66:67]
	v_mov_b32_e32 v56, vcc_lo
	ds_add_u64 v0, v[56:57]
	s_trap 2
.LBB12_932:                             ;   in Loop: Header=BB12_79 Depth=1
	s_or_b64 exec, exec, s[64:65]
	s_trap 2
	ds_read_b64 v[0:1], v0
	v_lshl_add_u64 v[58:59], v[58:59], 0, v[34:35]
	s_waitcnt lgkmcnt(0)
	v_cmp_lt_u64_e32 vcc, v[0:1], v[58:59]
	s_and_saveexec_b64 s[64:65], vcc
	s_cbranch_execz .LBB12_967
; %bb.933:                              ;   in Loop: Header=BB12_79 Depth=1
	s_mov_b32 s76, 0
	s_mov_b64 s[66:67], 0
                                        ; implicit-def: $sgpr68_sgpr69
                                        ; implicit-def: $sgpr70_sgpr71
	s_branch .LBB12_935
.LBB12_934:                             ;   in Loop: Header=BB12_935 Depth=2
	s_or_b64 exec, exec, s[74:75]
	s_and_b64 vcc, exec, vcc
	s_or_b64 s[66:67], vcc, s[66:67]
	s_andn2_b64 vcc, s[68:69], exec
	s_and_b64 s[68:69], s[70:71], exec
	s_or_b64 s[68:69], vcc, s[68:69]
	s_andn2_b64 exec, exec, s[66:67]
	s_cbranch_execz .LBB12_965
.LBB12_935:                             ;   Parent Loop BB12_79 Depth=1
                                        ; =>  This Inner Loop Header: Depth=2
	s_add_i32 s76, s76, 1
	s_cmpk_lg_i32 s76, 0x2710
	s_cselect_b64 s[72:73], -1, 0
	s_and_b64 vcc, exec, s[72:73]
                                        ; implicit-def: $sgpr74_sgpr75
	s_cbranch_vccnz .LBB12_937
; %bb.936:                              ;   in Loop: Header=BB12_935 Depth=2
	s_trap 2
	ds_read_b64 v[0:1], v0
	s_andn2_b64 s[72:73], s[72:73], exec
	s_mov_b32 s76, 0
	s_mov_b64 s[74:75], -1
	s_waitcnt vmcnt(0) lgkmcnt(0)
	flat_load_dword v0, v[0:1] sc0 sc1
	s_waitcnt vmcnt(0) lgkmcnt(0)
	buffer_inv sc0 sc1
	v_cmp_eq_u32_e32 vcc, 0, v0
	s_and_b64 vcc, vcc, exec
	s_or_b64 s[72:73], s[72:73], vcc
.LBB12_937:                             ;   in Loop: Header=BB12_935 Depth=2
	s_andn2_b64 s[70:71], s[70:71], exec
	s_and_b64 s[74:75], s[74:75], exec
	s_mov_b64 vcc, -1
	s_or_b64 s[70:71], s[70:71], s[74:75]
	s_and_saveexec_b64 s[74:75], s[72:73]
	s_cbranch_execz .LBB12_934
; %bb.938:                              ;   in Loop: Header=BB12_935 Depth=2
	s_sleep 1
	s_trap 2
	ds_read_b64 v[0:1], v0
	s_andn2_b64 s[70:71], s[70:71], exec
	s_waitcnt lgkmcnt(0)
	v_cmp_ge_u64_e32 vcc, v[0:1], v[58:59]
	s_orn2_b64 vcc, vcc, exec
	s_branch .LBB12_934
.LBB12_939:                             ;   in Loop: Header=BB12_79 Depth=1
	s_or_b64 exec, exec, s[66:67]
	s_and_saveexec_b64 vcc, s[68:69]
	s_xor_b64 vcc, exec, vcc
	s_cbranch_execz .LBB12_941
; %bb.940:                              ;   in Loop: Header=BB12_79 Depth=1
	ds_write_b32 v0, v39
	s_trap 2
.LBB12_941:                             ;   in Loop: Header=BB12_79 Depth=1
	s_or_b64 exec, exec, s[64:65]
	;;#ASMSTART
	s_wakeup
	;;#ASMEND
.LBB12_942:                             ;   in Loop: Header=BB12_79 Depth=1
	s_or_b64 exec, exec, s[62:63]
.LBB12_943:                             ;   in Loop: Header=BB12_79 Depth=1
	s_andn2_saveexec_b64 vcc, s[60:61]
	s_cbranch_execz .LBB12_945
; %bb.944:                              ;   in Loop: Header=BB12_79 Depth=1
	s_waitcnt lgkmcnt(0)
	s_barrier
.LBB12_945:                             ;   in Loop: Header=BB12_79 Depth=1
	s_or_b64 exec, exec, vcc
	s_or_b64 exec, exec, s[30:31]
	s_and_saveexec_b64 vcc, s[24:25]
	s_xor_b64 s[30:31], exec, vcc
	s_cbranch_execnz .LBB12_864
.LBB12_946:                             ;   in Loop: Header=BB12_79 Depth=1
	s_andn2_saveexec_b64 s[30:31], s[30:31]
	s_cbranch_execz .LBB12_990
.LBB12_947:                             ;   in Loop: Header=BB12_79 Depth=1
	s_and_saveexec_b64 vcc, s[46:47]
	s_xor_b64 s[60:61], exec, vcc
	s_cbranch_execz .LBB12_987
; %bb.948:                              ;   in Loop: Header=BB12_79 Depth=1
	s_and_saveexec_b64 s[62:63], s[16:17]
	s_cbranch_execz .LBB12_986
; %bb.949:                              ;   in Loop: Header=BB12_79 Depth=1
	s_mov_b64 s[66:67], exec
	v_mbcnt_lo_u32_b32 v0, s66, 0
	v_mbcnt_hi_u32_b32 v0, s67, v0
	v_cmp_eq_u32_e32 vcc, 0, v0
	;;#ASMSTART
	s_waitcnt lgkmcnt(0) vmcnt(0)
	;;#ASMEND
	s_and_saveexec_b64 s[64:65], vcc
	s_cbranch_execz .LBB12_951
; %bb.950:                              ;   in Loop: Header=BB12_79 Depth=1
	s_bcnt1_i32_b64 vcc_lo, s[66:67]
	v_mov_b32_e32 v56, vcc_lo
	ds_add_u64 v0, v[56:57]
	s_trap 2
.LBB12_951:                             ;   in Loop: Header=BB12_79 Depth=1
	s_or_b64 exec, exec, s[64:65]
	s_trap 2
	ds_read_b64 v[0:1], v0
	v_lshl_add_u64 v[58:59], v[58:59], 0, v[34:35]
	s_waitcnt lgkmcnt(0)
	v_cmp_lt_u64_e32 vcc, v[0:1], v[58:59]
	s_and_saveexec_b64 s[64:65], vcc
	s_cbranch_execz .LBB12_985
; %bb.952:                              ;   in Loop: Header=BB12_79 Depth=1
	s_mov_b32 s76, 0
	s_mov_b64 s[66:67], 0
                                        ; implicit-def: $sgpr68_sgpr69
                                        ; implicit-def: $sgpr70_sgpr71
	s_branch .LBB12_954
.LBB12_953:                             ;   in Loop: Header=BB12_954 Depth=2
	s_or_b64 exec, exec, s[74:75]
	s_and_b64 vcc, exec, vcc
	s_or_b64 s[66:67], vcc, s[66:67]
	s_andn2_b64 vcc, s[68:69], exec
	s_and_b64 s[68:69], s[70:71], exec
	s_or_b64 s[68:69], vcc, s[68:69]
	s_andn2_b64 exec, exec, s[66:67]
	s_cbranch_execz .LBB12_983
.LBB12_954:                             ;   Parent Loop BB12_79 Depth=1
                                        ; =>  This Inner Loop Header: Depth=2
	s_add_i32 s76, s76, 1
	s_cmpk_lg_i32 s76, 0x2710
	s_cselect_b64 s[72:73], -1, 0
	s_and_b64 vcc, exec, s[72:73]
                                        ; implicit-def: $sgpr74_sgpr75
	s_cbranch_vccnz .LBB12_956
; %bb.955:                              ;   in Loop: Header=BB12_954 Depth=2
	s_trap 2
	ds_read_b64 v[0:1], v0
	s_andn2_b64 s[72:73], s[72:73], exec
	s_mov_b32 s76, 0
	s_mov_b64 s[74:75], -1
	s_waitcnt vmcnt(0) lgkmcnt(0)
	flat_load_dword v0, v[0:1] sc0 sc1
	s_waitcnt vmcnt(0) lgkmcnt(0)
	buffer_inv sc0 sc1
	v_cmp_eq_u32_e32 vcc, 0, v0
	s_and_b64 vcc, vcc, exec
	s_or_b64 s[72:73], s[72:73], vcc
.LBB12_956:                             ;   in Loop: Header=BB12_954 Depth=2
	s_andn2_b64 s[70:71], s[70:71], exec
	s_and_b64 s[74:75], s[74:75], exec
	s_mov_b64 vcc, -1
	s_or_b64 s[70:71], s[70:71], s[74:75]
	s_and_saveexec_b64 s[74:75], s[72:73]
	s_cbranch_execz .LBB12_953
; %bb.957:                              ;   in Loop: Header=BB12_954 Depth=2
	s_sleep 1
	s_trap 2
	ds_read_b64 v[0:1], v0
	s_andn2_b64 s[70:71], s[70:71], exec
	s_waitcnt lgkmcnt(0)
	v_cmp_ge_u64_e32 vcc, v[0:1], v[58:59]
	s_orn2_b64 vcc, vcc, exec
	s_branch .LBB12_953
.LBB12_958:                             ;   in Loop: Header=BB12_79 Depth=1
	s_or_b64 exec, exec, s[66:67]
	s_and_saveexec_b64 vcc, s[68:69]
	s_xor_b64 vcc, exec, vcc
	s_cbranch_execz .LBB12_960
; %bb.959:                              ;   in Loop: Header=BB12_79 Depth=1
	ds_write_b32 v0, v39
	s_trap 2
.LBB12_960:                             ;   in Loop: Header=BB12_79 Depth=1
	s_or_b64 exec, exec, s[64:65]
	;;#ASMSTART
	s_wakeup
	;;#ASMEND
.LBB12_961:                             ;   in Loop: Header=BB12_79 Depth=1
	s_or_b64 exec, exec, s[62:63]
.LBB12_962:                             ;   in Loop: Header=BB12_79 Depth=1
	s_andn2_saveexec_b64 vcc, s[60:61]
	s_cbranch_execz .LBB12_964
; %bb.963:                              ;   in Loop: Header=BB12_79 Depth=1
	;;#ASMSTART
	s_waitcnt lgkmcnt(0) vmcnt(0)
	;;#ASMEND
	s_barrier
.LBB12_964:                             ;   in Loop: Header=BB12_79 Depth=1
	s_or_b64 exec, exec, vcc
	v_and_b32_e32 v0, 16, v62
                                        ; implicit-def: $vgpr10
	s_andn2_saveexec_b64 s[26:27], s[26:27]
	s_cbranch_execz .LBB12_976
	s_branch .LBB12_973
.LBB12_965:                             ;   in Loop: Header=BB12_79 Depth=1
	s_or_b64 exec, exec, s[66:67]
	s_and_saveexec_b64 vcc, s[68:69]
	s_xor_b64 vcc, exec, vcc
	s_cbranch_execz .LBB12_967
; %bb.966:                              ;   in Loop: Header=BB12_79 Depth=1
	ds_write_b32 v0, v39
	s_trap 2
.LBB12_967:                             ;   in Loop: Header=BB12_79 Depth=1
	s_or_b64 exec, exec, s[64:65]
	;;#ASMSTART
	s_wakeup
	;;#ASMEND
.LBB12_968:                             ;   in Loop: Header=BB12_79 Depth=1
	s_or_b64 exec, exec, s[62:63]
.LBB12_969:                             ;   in Loop: Header=BB12_79 Depth=1
	s_andn2_saveexec_b64 vcc, s[60:61]
	s_cbranch_execz .LBB12_971
; %bb.970:                              ;   in Loop: Header=BB12_79 Depth=1
	s_waitcnt lgkmcnt(0)
	s_barrier
.LBB12_971:                             ;   in Loop: Header=BB12_79 Depth=1
	s_or_b64 exec, exec, vcc
	s_or_b64 exec, exec, s[26:27]
                                        ; implicit-def: $vgpr0
	s_and_saveexec_b64 s[26:27], s[54:55]
	s_xor_b64 s[26:27], exec, s[26:27]
	s_cbranch_execnz .LBB12_916
.LBB12_972:                             ;   in Loop: Header=BB12_79 Depth=1
	s_andn2_saveexec_b64 s[26:27], s[26:27]
	s_cbranch_execz .LBB12_976
.LBB12_973:                             ;   in Loop: Header=BB12_79 Depth=1
	s_trap 2
	ds_read_b32 v1, v0
	v_cmp_lt_i32_e32 vcc, 0, v10
	v_and_b32_e32 v2, 16, v62
	v_and_b32_e32 v0, 16, v62
	s_waitcnt lgkmcnt(0)
	v_readfirstlane_b32 s60, v1
	s_cmp_eq_u32 s60, 0
	s_cselect_b64 s[60:61], -1, 0
	s_and_b64 s[60:61], vcc, s[60:61]
	v_cmp_ne_u32_e32 vcc, 0, v2
	s_and_b64 s[60:61], vcc, s[60:61]
	s_and_saveexec_b64 vcc, s[60:61]
	s_cbranch_execz .LBB12_975
; %bb.974:                              ;   in Loop: Header=BB12_79 Depth=1
	v_mov_b32_e32 v0, 1
	buffer_wbl2 sc1
	s_waitcnt vmcnt(0)
	buffer_inv sc1
.LBB12_975:                             ;   in Loop: Header=BB12_79 Depth=1
	s_or_b64 exec, exec, vcc
.LBB12_976:                             ;   in Loop: Header=BB12_79 Depth=1
	s_or_b64 exec, exec, s[26:27]
	v_cmp_ne_u32_e32 vcc, 0, v0
	s_mov_b64 s[26:27], s[34:35]
	s_mov_b64 s[60:61], s[30:31]
	s_and_saveexec_b64 s[62:63], vcc
; %bb.977:                              ;   in Loop: Header=BB12_79 Depth=1
	s_andn2_b64 s[26:27], s[30:31], exec
	s_and_b64 vcc, s[12:13], exec
	s_or_b64 s[60:61], s[26:27], vcc
	s_andn2_b64 s[26:27], s[34:35], exec
	s_and_b64 vcc, s[14:15], exec
	s_or_b64 s[26:27], s[26:27], vcc
; %bb.978:                              ;   in Loop: Header=BB12_79 Depth=1
	s_or_b64 exec, exec, s[62:63]
	s_andn2_b64 vcc, s[30:31], exec
	s_and_b64 s[60:61], s[60:61], exec
	s_or_b64 s[60:61], vcc, s[60:61]
	s_andn2_b64 vcc, s[34:35], exec
	s_and_b64 s[26:27], s[26:27], exec
	s_or_b64 vcc, vcc, s[26:27]
.LBB12_979:                             ;   in Loop: Header=BB12_79 Depth=1
	s_or_b64 exec, exec, s[28:29]
	s_andn2_b64 s[26:27], s[30:31], exec
	s_and_b64 s[28:29], s[60:61], exec
	s_or_b64 s[30:31], s[26:27], s[28:29]
	s_andn2_b64 s[26:27], s[34:35], exec
	s_and_b64 s[28:29], vcc, exec
	s_or_b64 s[34:35], s[26:27], s[28:29]
.LBB12_980:                             ;   in Loop: Header=BB12_79 Depth=1
	s_or_b64 exec, exec, s[36:37]
	s_and_saveexec_b64 s[26:27], s[34:35]
	s_cbranch_execz .LBB12_982
; %bb.981:                              ;   in Loop: Header=BB12_79 Depth=1
	s_or_b64 s[30:31], s[30:31], exec
	flat_store_dword v[42:43], v39 sc0 sc1
.LBB12_982:                             ;   in Loop: Header=BB12_79 Depth=1
	s_or_b64 exec, exec, s[26:27]
	s_andn2_b64 s[26:27], s[56:57], exec
	s_and_b64 s[28:29], s[30:31], exec
	s_or_b64 s[56:57], s[26:27], s[28:29]
	s_or_b64 exec, exec, s[58:59]
	s_and_saveexec_b64 s[26:27], s[56:57]
	s_cbranch_execz .LBB12_78
	s_branch .LBB12_994
.LBB12_983:                             ;   in Loop: Header=BB12_79 Depth=1
	s_or_b64 exec, exec, s[66:67]
	s_and_saveexec_b64 vcc, s[68:69]
	s_xor_b64 vcc, exec, vcc
	s_cbranch_execz .LBB12_985
; %bb.984:                              ;   in Loop: Header=BB12_79 Depth=1
	ds_write_b32 v0, v39
	s_trap 2
.LBB12_985:                             ;   in Loop: Header=BB12_79 Depth=1
	s_or_b64 exec, exec, s[64:65]
	;;#ASMSTART
	s_wakeup
	;;#ASMEND
.LBB12_986:                             ;   in Loop: Header=BB12_79 Depth=1
	s_or_b64 exec, exec, s[62:63]
.LBB12_987:                             ;   in Loop: Header=BB12_79 Depth=1
	s_andn2_saveexec_b64 vcc, s[60:61]
	s_cbranch_execz .LBB12_989
; %bb.988:                              ;   in Loop: Header=BB12_79 Depth=1
	;;#ASMSTART
	s_waitcnt lgkmcnt(0) vmcnt(0)
	;;#ASMEND
	s_barrier
.LBB12_989:                             ;   in Loop: Header=BB12_79 Depth=1
	s_or_b64 exec, exec, vcc
.LBB12_990:                             ;   in Loop: Header=BB12_79 Depth=1
	s_or_b64 exec, exec, s[30:31]
	v_and_b32_e32 v0, 32, v62
	v_cmp_ne_u32_e32 vcc, 0, v0
	s_andn2_b64 s[30:31], s[34:35], exec
	s_and_b64 vcc, vcc, exec
	s_or_b64 vcc, s[30:31], vcc
.LBB12_991:                             ;   in Loop: Header=BB12_79 Depth=1
	s_or_b64 exec, exec, s[56:57]
	scratch_load_dwordx2 v[16:17], off, s33 offset:136 ; 8-byte Folded Reload
	s_andn2_b64 s[30:31], s[34:35], exec
	s_and_b64 vcc, vcc, exec
	s_or_b64 s[34:35], s[30:31], vcc
.LBB12_992:                             ;   in Loop: Header=BB12_79 Depth=1
	s_or_b64 exec, exec, s[36:37]
	s_and_b64 s[56:57], s[34:35], exec
                                        ; implicit-def: $vgpr60
                                        ; implicit-def: $vgpr31
                                        ; implicit-def: $vgpr10_vgpr11
	s_andn2_saveexec_b64 s[58:59], s[58:59]
	s_cbranch_execnz .LBB12_88
.LBB12_993:                             ;   in Loop: Header=BB12_79 Depth=1
	s_or_b64 exec, exec, s[58:59]
	s_and_saveexec_b64 s[26:27], s[56:57]
	s_cbranch_execz .LBB12_78
.LBB12_994:                             ;   in Loop: Header=BB12_79 Depth=1
	v_lshl_add_u64 v[8:9], v[8:9], 0, 1
	flat_store_dwordx2 v[20:21], v[8:9] sc0 sc1
	s_branch .LBB12_78
.LBB12_995:
	s_or_b64 exec, exec, s[44:45]
	v_accvgpr_read_b32 v25, a11
	v_accvgpr_read_b32 v31, a0
	;; [unrolled: 1-line block ×5, first 2 shown]
.LBB12_996:
	s_or_b64 exec, exec, s[42:43]
	v_and_b32_e32 v0, 0x800, v62
	v_cmp_eq_u32_e32 vcc, 0, v0
	s_and_saveexec_b64 s[0:1], vcc
	s_cbranch_execz .LBB12_1031
; %bb.997:
	v_and_b32_e32 v0, 48, v62
	v_cmp_ne_u32_e32 vcc, 0, v0
	s_and_saveexec_b64 s[2:3], vcc
	s_cbranch_execz .LBB12_999
; %bb.998:
	s_waitcnt lgkmcnt(0)
	flat_store_dwordx2 v[24:25], v[8:9] offset:104
.LBB12_999:
	s_or_b64 exec, exec, s[2:3]
	s_movk_i32 s2, 0x88
	v_and_b32_e32 v0, 0x88, v62
	v_cmp_eq_u32_e32 vcc, s2, v0
	s_and_saveexec_b64 s[2:3], vcc
	s_cbranch_execz .LBB12_1011
; %bb.1000:
	s_waitcnt lgkmcnt(0)
	v_add_u32_e32 v0, -1, v8
	v_and_b32_e32 v0, 7, v0
	v_mad_u64_u32 v[0:1], s[4:5], v0, 24, v[6:7]
	v_lshl_add_u64 v[0:1], v[0:1], 0, 8
	s_mov_b64 s[4:5], 0
	v_mov_b32_e32 v2, 0
	s_movk_i32 s20, 0x270e
                                        ; implicit-def: $sgpr6_sgpr7
	s_branch .LBB12_1005
.LBB12_1001:                            ;   in Loop: Header=BB12_1005 Depth=1
	s_or_b64 exec, exec, s[18:19]
	v_mov_b32_e32 v3, 0
	s_orn2_b64 s[16:17], s[16:17], exec
.LBB12_1002:                            ;   in Loop: Header=BB12_1005 Depth=1
	s_or_b64 exec, exec, s[14:15]
	s_and_b64 s[14:15], s[16:17], exec
	v_mov_b32_e32 v2, v3
.LBB12_1003:                            ;   in Loop: Header=BB12_1005 Depth=1
	s_or_b64 exec, exec, s[12:13]
	s_xor_b64 s[12:13], s[14:15], -1
	s_andn2_b64 s[6:7], s[6:7], exec
	s_and_b64 s[12:13], s[12:13], exec
	s_or_b64 s[6:7], s[6:7], s[12:13]
.LBB12_1004:                            ;   in Loop: Header=BB12_1005 Depth=1
	s_or_b64 exec, exec, s[10:11]
	s_and_b64 s[10:11], exec, s[6:7]
	s_or_b64 s[4:5], s[10:11], s[4:5]
	s_andn2_b64 exec, exec, s[4:5]
	s_cbranch_execz .LBB12_1010
.LBB12_1005:                            ; =>This Inner Loop Header: Depth=1
	flat_load_dwordx2 v[4:5], v[0:1] sc0 sc1
	s_waitcnt vmcnt(0)
	s_or_b64 s[6:7], s[6:7], exec
	s_waitcnt lgkmcnt(0)
	v_cmp_ne_u64_e32 vcc, -1, v[4:5]
	s_and_saveexec_b64 s[10:11], vcc
	s_cbranch_execz .LBB12_1004
; %bb.1006:                             ;   in Loop: Header=BB12_1005 Depth=1
	v_and_b32_e32 v3, 64, v62
	v_cmp_eq_u32_e32 vcc, 0, v3
	s_mov_b64 s[14:15], 0
	s_and_saveexec_b64 s[12:13], vcc
	s_cbranch_execz .LBB12_1003
; %bb.1007:                             ;   in Loop: Header=BB12_1005 Depth=1
	v_add_u32_e32 v3, 1, v2
	v_cmp_lt_i32_e32 vcc, s20, v2
	s_mov_b64 s[16:17], -1
	s_and_saveexec_b64 s[14:15], vcc
	s_cbranch_execz .LBB12_1002
; %bb.1008:                             ;   in Loop: Header=BB12_1005 Depth=1
	s_trap 2
	ds_read_b64 v[2:3], v0
	s_waitcnt lgkmcnt(0)
	flat_load_dword v2, v[2:3] sc0 sc1
	s_waitcnt vmcnt(0) lgkmcnt(0)
	buffer_inv sc0 sc1
	v_cmp_ne_u32_e32 vcc, 0, v2
	s_and_saveexec_b64 s[18:19], vcc
	s_cbranch_execz .LBB12_1001
; %bb.1009:                             ;   in Loop: Header=BB12_1005 Depth=1
	v_or_b32_e32 v62, 64, v62
	s_xor_b64 s[16:17], exec, -1
	ds_write_b32 v0, v2
	s_trap 2
	s_branch .LBB12_1001
.LBB12_1010:
	s_or_b64 exec, exec, s[4:5]
.LBB12_1011:
	s_or_b64 exec, exec, s[2:3]
	v_and_b32_e32 v0, 0x2000, v62
	v_cmp_ne_u32_e32 vcc, 0, v0
	s_and_saveexec_b64 s[2:3], vcc
	s_cbranch_execz .LBB12_1013
; %bb.1012:
	s_trap 2
	ds_read_b64 v[0:1], v0
	v_accvgpr_read_b32 v2, a8
	v_accvgpr_read_b32 v3, a9
	s_waitcnt lgkmcnt(0)
	flat_store_dwordx2 v[2:3], v[0:1] offset:16
.LBB12_1013:
	s_or_b64 exec, exec, s[2:3]
	v_cmp_ne_u32_e32 vcc, 64, v18
	s_and_b64 exec, exec, vcc
	s_cbranch_execz .LBB12_1031
; %bb.1014:
	v_cmp_ne_u32_sdwa s[2:3], v18, v19 src0_sel:DWORD src1_sel:WORD_0
	s_and_saveexec_b64 s[4:5], s[2:3]
	s_xor_b64 s[2:3], exec, s[4:5]
	s_cbranch_execz .LBB12_1029
; %bb.1015:
	v_and_b32_e32 v0, 63, v31
	v_cmp_eq_u32_e32 vcc, 0, v0
	s_and_saveexec_b64 s[4:5], vcc
	s_cbranch_execz .LBB12_1028
; %bb.1016:
	s_mov_b64 s[10:11], exec
	v_mbcnt_lo_u32_b32 v0, s10, 0
	v_mbcnt_hi_u32_b32 v0, s11, v0
	v_cmp_eq_u32_e32 vcc, 0, v0
	s_waitcnt lgkmcnt(0)
	s_and_saveexec_b64 s[6:7], vcc
	s_cbranch_execz .LBB12_1018
; %bb.1017:
	s_bcnt1_i32_b64 s10, s[10:11]
	v_mov_b32_e32 v0, s10
	v_mov_b32_e32 v1, 0
	ds_add_u64 v0, v[0:1]
	s_trap 2
.LBB12_1018:
	s_or_b64 exec, exec, s[6:7]
	v_ashrrev_i32_e32 v0, 31, v18
	v_lshrrev_b32_e32 v0, 26, v0
	s_trap 2
	ds_read_b64 v[2:3], v0
	v_add_u32_e32 v0, v18, v0
	v_ashrrev_i32_e32 v0, 6, v0
	v_ashrrev_i32_e32 v1, 31, v0
	v_lshl_add_u64 v[0:1], v[58:59], 0, v[0:1]
	s_waitcnt lgkmcnt(0)
	v_cmp_lt_u64_e32 vcc, v[2:3], v[0:1]
	s_and_saveexec_b64 s[6:7], vcc
	s_cbranch_execz .LBB12_1027
; %bb.1019:
	s_mov_b32 s22, 0
	s_mov_b64 s[10:11], 0
                                        ; implicit-def: $sgpr12_sgpr13
                                        ; implicit-def: $sgpr14_sgpr15
	s_branch .LBB12_1021
.LBB12_1020:                            ;   in Loop: Header=BB12_1021 Depth=1
	s_or_b64 exec, exec, s[20:21]
	s_and_b64 s[16:17], exec, s[18:19]
	s_or_b64 s[10:11], s[16:17], s[10:11]
	s_andn2_b64 s[12:13], s[12:13], exec
	s_and_b64 s[16:17], s[14:15], exec
	s_or_b64 s[12:13], s[12:13], s[16:17]
	s_andn2_b64 exec, exec, s[10:11]
	s_cbranch_execz .LBB12_1025
.LBB12_1021:                            ; =>This Inner Loop Header: Depth=1
	s_add_i32 s22, s22, 1
	s_cmpk_lg_i32 s22, 0x2710
	s_cselect_b64 s[16:17], -1, 0
	s_and_b64 vcc, exec, s[16:17]
                                        ; implicit-def: $sgpr20_sgpr21
	s_cbranch_vccnz .LBB12_1023
; %bb.1022:                             ;   in Loop: Header=BB12_1021 Depth=1
	s_trap 2
	ds_read_b64 v[2:3], v0
	s_andn2_b64 s[16:17], s[16:17], exec
	s_mov_b32 s22, 0
	s_mov_b64 s[20:21], -1
	s_waitcnt vmcnt(0) lgkmcnt(0)
	flat_load_dword v2, v[2:3] sc0 sc1
	s_waitcnt vmcnt(0) lgkmcnt(0)
	buffer_inv sc0 sc1
	v_cmp_eq_u32_e32 vcc, 0, v2
	s_and_b64 s[18:19], vcc, exec
	s_or_b64 s[16:17], s[16:17], s[18:19]
.LBB12_1023:                            ;   in Loop: Header=BB12_1021 Depth=1
	s_andn2_b64 s[14:15], s[14:15], exec
	s_and_b64 s[20:21], s[20:21], exec
	s_mov_b64 s[18:19], -1
	s_or_b64 s[14:15], s[14:15], s[20:21]
	s_and_saveexec_b64 s[20:21], s[16:17]
	s_cbranch_execz .LBB12_1020
; %bb.1024:                             ;   in Loop: Header=BB12_1021 Depth=1
	s_sleep 1
	s_trap 2
	ds_read_b64 v[2:3], v0
	s_andn2_b64 s[14:15], s[14:15], exec
	s_waitcnt lgkmcnt(0)
	v_cmp_ge_u64_e32 vcc, v[2:3], v[0:1]
	s_orn2_b64 s[18:19], vcc, exec
	s_branch .LBB12_1020
.LBB12_1025:
	s_or_b64 exec, exec, s[10:11]
	s_and_saveexec_b64 s[10:11], s[12:13]
	s_xor_b64 s[10:11], exec, s[10:11]
	s_cbranch_execz .LBB12_1027
; %bb.1026:
	v_mov_b32_e32 v0, 1
	ds_write_b32 v0, v0
	s_trap 2
.LBB12_1027:
	s_or_b64 exec, exec, s[6:7]
	;;#ASMSTART
	s_wakeup
	;;#ASMEND
.LBB12_1028:
	s_or_b64 exec, exec, s[4:5]
.LBB12_1029:
	s_andn2_saveexec_b64 s[2:3], s[2:3]
	s_cbranch_execz .LBB12_1031
; %bb.1030:
	s_waitcnt lgkmcnt(0)
	s_barrier
.LBB12_1031:
	s_or_b64 exec, exec, s[0:1]
.LBB12_1032:
	s_andn2_saveexec_b64 s[22:23], s[40:41]
	s_cbranch_execz .LBB12_1034
; %bb.1033:
	s_getpc_b64 s[0:1]
	s_add_u32 s0, s0, __PRETTY_FUNCTION__._ZN10PrimitivesIa7FuncSumIaE12FanSymmetricILi1EELi0E11ProtoSimpleILi1ELi1ELi0ELi4ELi0ELi0EELi0ELb0ELi0ELi0ELi0EEC2EiiPKiS8_PKvPvmhhhP15ncclDevWorkCollP14ncclDevWorkP2pii@rel32@lo+4
	s_addc_u32 s1, s1, __PRETTY_FUNCTION__._ZN10PrimitivesIa7FuncSumIaE12FanSymmetricILi1EELi0E11ProtoSimpleILi1ELi1ELi0ELi4ELi0ELi0EELi0ELb0ELi0ELi0ELi0EEC2EiiPKiS8_PKvPvmhhhP15ncclDevWorkCollP14ncclDevWorkP2pii@rel32@hi+12
	v_mov_b32_e32 v0, s0
	v_mov_b32_e32 v1, s1
	s_getpc_b64 s[2:3]
	s_add_u32 s2, s2, __assert_fail@rel32@lo+4
	s_addc_u32 s3, s3, __assert_fail@rel32@hi+12
	s_swappc_b64 s[30:31], s[2:3]
	; divergent unreachable
.LBB12_1034:
	s_or_b64 exec, exec, s[22:23]
.LBB12_1035:
	s_or_b64 exec, exec, s[38:39]
	scratch_load_dword a50, off, s33        ; 4-byte Folded Reload
	scratch_load_dword a49, off, s33 offset:4 ; 4-byte Folded Reload
	scratch_load_dword a48, off, s33 offset:8 ; 4-byte Folded Reload
	;; [unrolled: 1-line block ×29, first 2 shown]
	s_waitcnt lgkmcnt(0)
	scratch_load_dword v43, off, s33 offset:120 ; 4-byte Folded Reload
	scratch_load_dword v42, off, s33 offset:124 ; 4-byte Folded Reload
	;; [unrolled: 1-line block ×4, first 2 shown]
	v_readlane_b32 s30, v63, 52
	v_readlane_b32 s31, v63, 53
	;; [unrolled: 1-line block ×55, first 2 shown]
	s_or_saveexec_b64 s[2:3], -1
	scratch_load_dword v63, off, s33 offset:144 ; 4-byte Folded Reload
	s_mov_b64 exec, s[2:3]
	s_addk_i32 s32, 0xff60
	s_mov_b32 s33, s0
	s_waitcnt vmcnt(0)
	s_setpc_b64 s[30:31]
.Lfunc_end12:
	.size	_ZN12_GLOBAL__N_17runRingIa7FuncSumIaE11ProtoSimpleILi1ELi1ELi0ELi4ELi0ELi0EELi0ELi4ELi0EEEviiP15ncclDevWorkColl, .Lfunc_end12-_ZN12_GLOBAL__N_17runRingIa7FuncSumIaE11ProtoSimpleILi1ELi1ELi0ELi4ELi0ELi0EELi0ELi4ELi0EEEviiP15ncclDevWorkColl
                                        ; -- End function
	.section	.AMDGPU.csdata,"",@progbits
; Function info:
; codeLenInByte = 38356
; NumSgprs: 92
; NumVgprs: 64
; NumAgprs: 51
; TotalNumVgprs: 115
; ScratchSize: 224
; MemoryBound: 1
	.text
	.p2align	2                               ; -- Begin function _Z46ncclDevFunc_Broadcast_RING_SIMPLE_Sum_i8_0_0_4v
	.type	_Z46ncclDevFunc_Broadcast_RING_SIMPLE_Sum_i8_0_0_4v,@function
_Z46ncclDevFunc_Broadcast_RING_SIMPLE_Sum_i8_0_0_4v: ; @_Z46ncclDevFunc_Broadcast_RING_SIMPLE_Sum_i8_0_0_4v
; %bb.0:
	s_waitcnt vmcnt(0) expcnt(0) lgkmcnt(0)
	s_mov_b32 s0, s33
	s_mov_b32 s33, s32
	s_or_saveexec_b64 s[2:3], -1
	scratch_store_dword off, v43, s33 offset:16 ; 4-byte Folded Spill
	s_mov_b64 exec, s[2:3]
	v_writelane_b32 v43, s0, 62
	s_add_i32 s32, s32, 32
	scratch_store_dword off, v40, s33 offset:12 ; 4-byte Folded Spill
	scratch_store_dword off, v41, s33 offset:8 ; 4-byte Folded Spill
	;; [unrolled: 1-line block ×3, first 2 shown]
	scratch_store_dword off, v63, s33       ; 4-byte Folded Spill
	v_writelane_b32 v43, s34, 0
	v_writelane_b32 v43, s35, 1
	;; [unrolled: 1-line block ×61, first 2 shown]
	s_nop 1
	v_writelane_b32 v43, s31, 61
	s_trap 2
	ds_read_b32 v0, v0
	v_mov_b32_e32 v40, v31
	s_mov_b32 s88, s12
	s_mov_b64 s[86:87], s[8:9]
	s_waitcnt lgkmcnt(0)
	v_cmp_gt_i32_e32 vcc, 1, v0
	s_cbranch_vccnz .LBB13_8
; %bb.1:
	s_mov_b32 s89, 0
	v_and_b32_e32 v41, 0x3ff, v40
	s_mov_b64 s[90:91], src_shared_base
	v_mov_b32_e32 v42, 6
	s_branch .LBB13_3
.LBB13_2:                               ;   in Loop: Header=BB13_3 Depth=1
	s_or_b64 exec, exec, s[92:93]
	s_trap 2
	ds_read_b32 v0, v0
	s_add_i32 s89, s89, 1
	s_waitcnt lgkmcnt(0)
	v_cmp_lt_i32_e32 vcc, s89, v0
	s_cbranch_vccz .LBB13_8
.LBB13_3:                               ; =>This Inner Loop Header: Depth=1
	s_trap 2
	ds_read_b32 v0, v0
	s_cmp_eq_u32 s89, 0
	s_cbranch_scc1 .LBB13_6
; %bb.4:                                ;   in Loop: Header=BB13_3 Depth=1
	s_trap 2
	s_waitcnt lgkmcnt(0)
	ds_read_b32 v1, v0
	s_waitcnt lgkmcnt(0)
	v_xor_b32_e32 v1, v1, v0
	v_and_b32_e32 v1, 0xff0000, v1
	v_cmp_eq_u32_e32 vcc, 0, v1
	s_cbranch_vccnz .LBB13_6
; %bb.5:                                ;   in Loop: Header=BB13_3 Depth=1
	s_barrier
	ds_read_b32 v0, v0
.LBB13_6:                               ;   in Loop: Header=BB13_3 Depth=1
	s_waitcnt lgkmcnt(0)
	v_lshlrev_b32_sdwa v1, v42, v0 dst_sel:DWORD dst_unused:UNUSED_PAD src0_sel:DWORD src1_sel:BYTE_2
	v_cmp_lt_u32_e32 vcc, v41, v1
	s_and_saveexec_b64 s[92:93], vcc
	s_cbranch_execz .LBB13_2
; %bb.7:                                ;   in Loop: Header=BB13_3 Depth=1
	s_mov_b64 s[8:9], s[86:87]
	s_mov_b32 s12, s88
	v_mov_b32_e32 v31, v40
	v_mov_b32_e32 v0, v41
	;; [unrolled: 1-line block ×3, first 2 shown]
	s_getpc_b64 s[0:1]
	s_add_u32 s0, s0, _ZN12_GLOBAL__N_17runRingIa7FuncSumIaE11ProtoSimpleILi1ELi1ELi0ELi4ELi0ELi0EELi0ELi4ELi0EEEviiP15ncclDevWorkColl@rel32@lo+4
	s_addc_u32 s1, s1, _ZN12_GLOBAL__N_17runRingIa7FuncSumIaE11ProtoSimpleILi1ELi1ELi0ELi4ELi0ELi0EELi0ELi4ELi0EEEviiP15ncclDevWorkColl@rel32@hi+12
	s_swappc_b64 s[30:31], s[0:1]
	s_branch .LBB13_2
.LBB13_8:
	scratch_load_dword v63, off, s33        ; 4-byte Folded Reload
	scratch_load_dword v42, off, s33 offset:4 ; 4-byte Folded Reload
	scratch_load_dword v41, off, s33 offset:8 ; 4-byte Folded Reload
	;; [unrolled: 1-line block ×3, first 2 shown]
	v_readlane_b32 s30, v43, 60
	v_readlane_b32 s31, v43, 61
	v_readlane_b32 s93, v43, 59
	v_readlane_b32 s92, v43, 58
	v_readlane_b32 s91, v43, 57
	v_readlane_b32 s90, v43, 56
	v_readlane_b32 s89, v43, 55
	v_readlane_b32 s88, v43, 54
	v_readlane_b32 s87, v43, 53
	v_readlane_b32 s86, v43, 52
	v_readlane_b32 s85, v43, 51
	v_readlane_b32 s84, v43, 50
	v_readlane_b32 s83, v43, 49
	v_readlane_b32 s82, v43, 48
	v_readlane_b32 s81, v43, 47
	v_readlane_b32 s80, v43, 46
	v_readlane_b32 s79, v43, 45
	v_readlane_b32 s78, v43, 44
	v_readlane_b32 s77, v43, 43
	v_readlane_b32 s76, v43, 42
	v_readlane_b32 s75, v43, 41
	v_readlane_b32 s74, v43, 40
	v_readlane_b32 s73, v43, 39
	v_readlane_b32 s72, v43, 38
	v_readlane_b32 s71, v43, 37
	v_readlane_b32 s70, v43, 36
	v_readlane_b32 s69, v43, 35
	v_readlane_b32 s68, v43, 34
	v_readlane_b32 s67, v43, 33
	v_readlane_b32 s66, v43, 32
	v_readlane_b32 s65, v43, 31
	v_readlane_b32 s64, v43, 30
	v_readlane_b32 s63, v43, 29
	v_readlane_b32 s62, v43, 28
	v_readlane_b32 s61, v43, 27
	v_readlane_b32 s60, v43, 26
	v_readlane_b32 s59, v43, 25
	v_readlane_b32 s58, v43, 24
	v_readlane_b32 s57, v43, 23
	v_readlane_b32 s56, v43, 22
	v_readlane_b32 s55, v43, 21
	v_readlane_b32 s54, v43, 20
	v_readlane_b32 s53, v43, 19
	v_readlane_b32 s52, v43, 18
	v_readlane_b32 s51, v43, 17
	v_readlane_b32 s50, v43, 16
	v_readlane_b32 s49, v43, 15
	v_readlane_b32 s48, v43, 14
	v_readlane_b32 s47, v43, 13
	v_readlane_b32 s46, v43, 12
	v_readlane_b32 s45, v43, 11
	v_readlane_b32 s44, v43, 10
	v_readlane_b32 s43, v43, 9
	v_readlane_b32 s42, v43, 8
	v_readlane_b32 s41, v43, 7
	v_readlane_b32 s40, v43, 6
	v_readlane_b32 s39, v43, 5
	v_readlane_b32 s38, v43, 4
	v_readlane_b32 s37, v43, 3
	v_readlane_b32 s36, v43, 2
	v_readlane_b32 s35, v43, 1
	v_readlane_b32 s34, v43, 0
	v_readlane_b32 s0, v43, 62
	s_or_saveexec_b64 s[2:3], -1
	scratch_load_dword v43, off, s33 offset:16 ; 4-byte Folded Reload
	s_mov_b64 exec, s[2:3]
	s_addk_i32 s32, 0xffe0
	s_mov_b32 s33, s0
	s_waitcnt vmcnt(0)
	s_setpc_b64 s[30:31]
.Lfunc_end13:
	.size	_Z46ncclDevFunc_Broadcast_RING_SIMPLE_Sum_i8_0_0_4v, .Lfunc_end13-_Z46ncclDevFunc_Broadcast_RING_SIMPLE_Sum_i8_0_0_4v
                                        ; -- End function
	.section	.AMDGPU.csdata,"",@progbits
; Function info:
; codeLenInByte = 1376
; NumSgprs: 100
; NumVgprs: 64
; NumAgprs: 51
; TotalNumVgprs: 115
; ScratchSize: 256
; MemoryBound: 0
	.text
	.p2alignl 6, 3212836864
	.fill 256, 4, 3212836864
	.type	__const.__assert_fail.fmt,@object ; @__const.__assert_fail.fmt
	.section	.rodata.str1.16,"aMS",@progbits,1
	.p2align	4, 0x0
__const.__assert_fail.fmt:
	.asciz	"%s:%u: %s: Device-side assertion `%s' failed.\n"
	.size	__const.__assert_fail.fmt, 47

	.type	.str.1,@object                  ; @.str.1
	.section	.rodata.str1.1,"aMS",@progbits,1
.str.1:
	.asciz	"2*(nrecv+nsend) <= nthreads"
	.size	.str.1, 28

	.type	.str.2,@object                  ; @.str.2
.str.2:
	.asciz	"/root/src/amdgpu-assembly/repos/ROCm__rccl/hipify/src/device/prims_simple.h"
	.size	.str.2, 76

	.type	__PRETTY_FUNCTION__._ZN10PrimitivesIa7FuncSumIaE12FanSymmetricILi1EELi0E11ProtoSimpleILi1ELi1ELi0ELi1ELi0ELi0EELi0ELb0ELi0ELi0ELi0EEC2EiiPKiS8_PKvPvmhhhP15ncclDevWorkCollP14ncclDevWorkP2pii,@object ; @__PRETTY_FUNCTION__._ZN10PrimitivesIa7FuncSumIaE12FanSymmetricILi1EELi0E11ProtoSimpleILi1ELi1ELi0ELi1ELi0ELi0EELi0ELb0ELi0ELi0ELi0EEC2EiiPKiS8_PKvPvmhhhP15ncclDevWorkCollP14ncclDevWorkP2pii
__PRETTY_FUNCTION__._ZN10PrimitivesIa7FuncSumIaE12FanSymmetricILi1EELi0E11ProtoSimpleILi1ELi1ELi0ELi1ELi0ELi0EELi0ELb0ELi0ELi0ELi0EEC2EiiPKiS8_PKvPvmhhhP15ncclDevWorkCollP14ncclDevWorkP2pii:
	.asciz	"Primitives<signed char, FuncSum<signed char>, FanSymmetric<1>, 0, ProtoSimple<1, 1, 0, 1>, 0>::Primitives(int, int, const int *, const int *, const void *, void *, uint64_t, uint8_t, uint8_t, uint8_t, struct ncclDevWorkColl *, struct ncclDevWorkP2p *, int, int) [T = signed char, RedOp = FuncSum<signed char>, Fan = FanSymmetric<1>, Direct = 0, Proto = ProtoSimple<1, 1, 0, 1>, P2p = 0, isNetOffload = false, Metadata = 0, Pipeline = 0, useAcc = 0]"
	.size	__PRETTY_FUNCTION__._ZN10PrimitivesIa7FuncSumIaE12FanSymmetricILi1EELi0E11ProtoSimpleILi1ELi1ELi0ELi1ELi0ELi0EELi0ELb0ELi0ELi0ELi0EEC2EiiPKiS8_PKvPvmhhhP15ncclDevWorkCollP14ncclDevWorkP2pii, 449

	.type	__PRETTY_FUNCTION__._ZN10PrimitivesIa7FuncSumIaE12FanSymmetricILi1EELi0E11ProtoSimpleILi1ELi1ELi0ELi2ELi0ELi0EELi0ELb0ELi0ELi0ELi0EEC2EiiPKiS8_PKvPvmhhhP15ncclDevWorkCollP14ncclDevWorkP2pii,@object ; @__PRETTY_FUNCTION__._ZN10PrimitivesIa7FuncSumIaE12FanSymmetricILi1EELi0E11ProtoSimpleILi1ELi1ELi0ELi2ELi0ELi0EELi0ELb0ELi0ELi0ELi0EEC2EiiPKiS8_PKvPvmhhhP15ncclDevWorkCollP14ncclDevWorkP2pii
__PRETTY_FUNCTION__._ZN10PrimitivesIa7FuncSumIaE12FanSymmetricILi1EELi0E11ProtoSimpleILi1ELi1ELi0ELi2ELi0ELi0EELi0ELb0ELi0ELi0ELi0EEC2EiiPKiS8_PKvPvmhhhP15ncclDevWorkCollP14ncclDevWorkP2pii:
	.asciz	"Primitives<signed char, FuncSum<signed char>, FanSymmetric<1>, 0, ProtoSimple<1, 1, 0, 2>, 0>::Primitives(int, int, const int *, const int *, const void *, void *, uint64_t, uint8_t, uint8_t, uint8_t, struct ncclDevWorkColl *, struct ncclDevWorkP2p *, int, int) [T = signed char, RedOp = FuncSum<signed char>, Fan = FanSymmetric<1>, Direct = 0, Proto = ProtoSimple<1, 1, 0, 2>, P2p = 0, isNetOffload = false, Metadata = 0, Pipeline = 0, useAcc = 0]"
	.size	__PRETTY_FUNCTION__._ZN10PrimitivesIa7FuncSumIaE12FanSymmetricILi1EELi0E11ProtoSimpleILi1ELi1ELi0ELi2ELi0ELi0EELi0ELb0ELi0ELi0ELi0EEC2EiiPKiS8_PKvPvmhhhP15ncclDevWorkCollP14ncclDevWorkP2pii, 449

	.type	__PRETTY_FUNCTION__._ZN10PrimitivesIa7FuncSumIaE12FanSymmetricILi1EELi0E11ProtoSimpleILi1ELi1ELi0ELi4ELi0ELi0EELi0ELb0ELi0ELi0ELi0EEC2EiiPKiS8_PKvPvmhhhP15ncclDevWorkCollP14ncclDevWorkP2pii,@object ; @__PRETTY_FUNCTION__._ZN10PrimitivesIa7FuncSumIaE12FanSymmetricILi1EELi0E11ProtoSimpleILi1ELi1ELi0ELi4ELi0ELi0EELi0ELb0ELi0ELi0ELi0EEC2EiiPKiS8_PKvPvmhhhP15ncclDevWorkCollP14ncclDevWorkP2pii
__PRETTY_FUNCTION__._ZN10PrimitivesIa7FuncSumIaE12FanSymmetricILi1EELi0E11ProtoSimpleILi1ELi1ELi0ELi4ELi0ELi0EELi0ELb0ELi0ELi0ELi0EEC2EiiPKiS8_PKvPvmhhhP15ncclDevWorkCollP14ncclDevWorkP2pii:
	.asciz	"Primitives<signed char, FuncSum<signed char>, FanSymmetric<1>, 0, ProtoSimple<1, 1, 0, 4>, 0>::Primitives(int, int, const int *, const int *, const void *, void *, uint64_t, uint8_t, uint8_t, uint8_t, struct ncclDevWorkColl *, struct ncclDevWorkP2p *, int, int) [T = signed char, RedOp = FuncSum<signed char>, Fan = FanSymmetric<1>, Direct = 0, Proto = ProtoSimple<1, 1, 0, 4>, P2p = 0, isNetOffload = false, Metadata = 0, Pipeline = 0, useAcc = 0]"
	.size	__PRETTY_FUNCTION__._ZN10PrimitivesIa7FuncSumIaE12FanSymmetricILi1EELi0E11ProtoSimpleILi1ELi1ELi0ELi4ELi0ELi0EELi0ELb0ELi0ELi0ELi0EEC2EiiPKiS8_PKvPvmhhhP15ncclDevWorkCollP14ncclDevWorkP2pii, 449

	.type	__hip_cuid_e96790dd4fdf9836,@object ; @__hip_cuid_e96790dd4fdf9836
	.section	.bss,"aw",@nobits
	.globl	__hip_cuid_e96790dd4fdf9836
__hip_cuid_e96790dd4fdf9836:
	.byte	0                               ; 0x0
	.size	__hip_cuid_e96790dd4fdf9836, 1

	.ident	"AMD clang version 19.0.0git (https://github.com/RadeonOpenCompute/llvm-project roc-6.4.0 25133 c7fe45cf4b819c5991fe208aaa96edf142730f1d)"
	.section	".note.GNU-stack","",@progbits
	.addrsig
	.addrsig_sym _Z42ncclDevFunc_Broadcast_RING_LL_Sum_i8_0_0_1v
	.addrsig_sym _Z46ncclDevFunc_Broadcast_RING_SIMPLE_Sum_i8_0_0_1v
	.addrsig_sym _Z42ncclDevFunc_Broadcast_RING_LL_Sum_i8_0_0_2v
	.addrsig_sym _Z46ncclDevFunc_Broadcast_RING_SIMPLE_Sum_i8_0_0_2v
	.addrsig_sym _Z42ncclDevFunc_Broadcast_RING_LL_Sum_i8_0_0_4v
	.addrsig_sym _Z46ncclDevFunc_Broadcast_RING_SIMPLE_Sum_i8_0_0_4v
	.addrsig_sym ncclShmem
	.addrsig_sym __hip_cuid_e96790dd4fdf9836
	.amdgpu_metadata
---
amdhsa.kernels:  []
amdhsa.target:   amdgcn-amd-amdhsa--gfx942
amdhsa.version:
  - 1
  - 2
...

	.end_amdgpu_metadata
